;; amdgpu-corpus repo=ROCm/rocFFT kind=compiled arch=gfx906 opt=O3
	.text
	.amdgcn_target "amdgcn-amd-amdhsa--gfx906"
	.amdhsa_code_object_version 6
	.protected	bluestein_single_back_len539_dim1_half_op_CI_CI ; -- Begin function bluestein_single_back_len539_dim1_half_op_CI_CI
	.globl	bluestein_single_back_len539_dim1_half_op_CI_CI
	.p2align	8
	.type	bluestein_single_back_len539_dim1_half_op_CI_CI,@function
bluestein_single_back_len539_dim1_half_op_CI_CI: ; @bluestein_single_back_len539_dim1_half_op_CI_CI
; %bb.0:
	v_mul_u32_u24_e32 v1, 0x354, v0
	s_load_dwordx4 s[0:3], s[4:5], 0x28
	v_lshrrev_b32_e32 v1, 16, v1
	v_mad_u64_u32 v[8:9], s[6:7], s6, 3, v[1:2]
	v_mov_b32_e32 v9, 0
	s_waitcnt lgkmcnt(0)
	v_cmp_gt_u64_e32 vcc, s[0:1], v[8:9]
	s_and_saveexec_b64 s[0:1], vcc
	s_cbranch_execz .LBB0_15
; %bb.1:
	s_mov_b32 s0, 0xaaaaaaab
	v_mul_hi_u32 v2, v8, s0
	v_mul_lo_u16_e32 v1, 0x4d, v1
	s_load_dwordx2 s[6:7], s[4:5], 0x0
	s_load_dwordx2 s[12:13], s[4:5], 0x38
	v_sub_u16_e32 v24, v0, v1
	v_lshrrev_b32_e32 v0, 1, v2
	v_lshl_add_u32 v0, v0, 1, v0
	v_sub_u32_e32 v0, v8, v0
	v_mul_u32_u24_e32 v11, 0x21b, v0
	v_cmp_gt_u16_e32 vcc, 49, v24
	v_lshlrev_b32_e32 v23, 2, v24
	v_lshlrev_b32_e32 v26, 2, v11
	s_and_saveexec_b64 s[8:9], vcc
	s_cbranch_execz .LBB0_3
; %bb.2:
	s_load_dwordx2 s[0:1], s[4:5], 0x18
	s_waitcnt lgkmcnt(0)
	s_load_dwordx4 s[16:19], s[0:1], 0x0
	s_waitcnt lgkmcnt(0)
	v_mad_u64_u32 v[0:1], s[0:1], s18, v8, 0
	v_mad_u64_u32 v[2:3], s[0:1], s16, v24, 0
	;; [unrolled: 1-line block ×4, first 2 shown]
	v_mov_b32_e32 v1, v4
	v_lshlrev_b64 v[0:1], 2, v[0:1]
	v_mov_b32_e32 v3, v5
	v_mov_b32_e32 v6, s3
	v_lshlrev_b64 v[2:3], 2, v[2:3]
	v_add_co_u32_e64 v0, s[0:1], s2, v0
	v_addc_co_u32_e64 v1, s[0:1], v6, v1, s[0:1]
	v_add_co_u32_e64 v0, s[0:1], v0, v2
	v_addc_co_u32_e64 v1, s[0:1], v1, v3, s[0:1]
	s_mul_i32 s0, s17, 0xc4
	s_mul_hi_u32 s1, s16, 0xc4
	s_add_i32 s2, s1, s0
	s_mul_i32 s3, s16, 0xc4
	global_load_dword v2, v[0:1], off
	global_load_dword v3, v23, s[6:7]
	v_mov_b32_e32 v4, s2
	v_add_co_u32_e64 v0, s[0:1], s3, v0
	v_addc_co_u32_e64 v1, s[0:1], v1, v4, s[0:1]
	global_load_dword v4, v[0:1], off
	global_load_dword v5, v23, s[6:7] offset:196
	v_mov_b32_e32 v6, s2
	v_add_co_u32_e64 v0, s[0:1], s3, v0
	v_addc_co_u32_e64 v1, s[0:1], v1, v6, s[0:1]
	global_load_dword v6, v[0:1], off
	global_load_dword v7, v23, s[6:7] offset:392
	;; [unrolled: 5-line block ×4, first 2 shown]
	v_mov_b32_e32 v14, s2
	v_add_co_u32_e64 v0, s[0:1], s3, v0
	v_addc_co_u32_e64 v1, s[0:1], v1, v14, s[0:1]
	global_load_dword v14, v23, s[6:7] offset:980
	global_load_dword v15, v[0:1], off
	v_mov_b32_e32 v16, s2
	v_add_co_u32_e64 v0, s[0:1], s3, v0
	v_addc_co_u32_e64 v1, s[0:1], v1, v16, s[0:1]
	global_load_dword v16, v[0:1], off
	global_load_dword v17, v23, s[6:7] offset:1176
	global_load_dword v18, v23, s[6:7] offset:1372
	v_mov_b32_e32 v19, s2
	v_add_co_u32_e64 v0, s[0:1], s3, v0
	v_addc_co_u32_e64 v1, s[0:1], v1, v19, s[0:1]
	global_load_dword v19, v[0:1], off
	v_mov_b32_e32 v20, s2
	v_add_co_u32_e64 v0, s[0:1], s3, v0
	v_addc_co_u32_e64 v1, s[0:1], v1, v20, s[0:1]
	global_load_dword v20, v[0:1], off
	global_load_dword v21, v23, s[6:7] offset:1568
	v_mov_b32_e32 v22, s2
	v_add_co_u32_e64 v0, s[0:1], s3, v0
	v_addc_co_u32_e64 v1, s[0:1], v1, v22, s[0:1]
	global_load_dword v25, v[0:1], off
	global_load_dword v27, v23, s[6:7] offset:1764
	v_add_co_u32_e64 v0, s[0:1], s3, v0
	v_addc_co_u32_e64 v1, s[0:1], v1, v22, s[0:1]
	global_load_dword v22, v[0:1], off
	global_load_dword v28, v23, s[6:7] offset:1960
	s_waitcnt vmcnt(21)
	v_lshrrev_b32_e32 v0, 16, v2
	s_waitcnt vmcnt(20)
	v_mul_f16_sdwa v1, v3, v2 dst_sel:DWORD dst_unused:UNUSED_PAD src0_sel:WORD_1 src1_sel:DWORD
	v_fma_f16 v1, v3, v0, -v1
	v_mul_f16_sdwa v0, v3, v0 dst_sel:DWORD dst_unused:UNUSED_PAD src0_sel:WORD_1 src1_sel:DWORD
	v_fma_f16 v0, v3, v2, v0
	v_pack_b32_f16 v0, v0, v1
	v_lshl_add_u32 v1, v24, 2, v26
	s_waitcnt vmcnt(19)
	v_lshrrev_b32_e32 v29, 16, v4
	ds_write_b32 v1, v0
	s_waitcnt vmcnt(18)
	v_mul_f16_sdwa v2, v5, v4 dst_sel:DWORD dst_unused:UNUSED_PAD src0_sel:WORD_1 src1_sel:DWORD
	v_mul_f16_sdwa v3, v5, v29 dst_sel:DWORD dst_unused:UNUSED_PAD src0_sel:WORD_1 src1_sel:DWORD
	v_fma_f16 v2, v5, v29, -v2
	s_waitcnt vmcnt(17)
	v_lshrrev_b32_e32 v0, 16, v6
	s_waitcnt vmcnt(16)
	v_mul_f16_sdwa v1, v7, v6 dst_sel:DWORD dst_unused:UNUSED_PAD src0_sel:WORD_1 src1_sel:DWORD
	v_fma_f16 v1, v7, v0, -v1
	v_mul_f16_sdwa v0, v7, v0 dst_sel:DWORD dst_unused:UNUSED_PAD src0_sel:WORD_1 src1_sel:DWORD
	v_fma_f16 v3, v5, v4, v3
	v_fma_f16 v0, v7, v6, v0
	v_add_u32_e32 v6, v26, v23
	v_pack_b32_f16 v2, v3, v2
	v_pack_b32_f16 v0, v0, v1
	s_waitcnt vmcnt(15)
	v_lshrrev_b32_e32 v4, 16, v9
	s_waitcnt vmcnt(14)
	v_mul_f16_sdwa v5, v10, v9 dst_sel:DWORD dst_unused:UNUSED_PAD src0_sel:WORD_1 src1_sel:DWORD
	ds_write2_b32 v6, v2, v0 offset0:49 offset1:98
	s_waitcnt vmcnt(13)
	v_lshrrev_b32_e32 v0, 16, v12
	s_waitcnt vmcnt(12)
	v_mul_f16_sdwa v1, v13, v12 dst_sel:DWORD dst_unused:UNUSED_PAD src0_sel:WORD_1 src1_sel:DWORD
	v_fma_f16 v5, v10, v4, -v5
	v_mul_f16_sdwa v4, v10, v4 dst_sel:DWORD dst_unused:UNUSED_PAD src0_sel:WORD_1 src1_sel:DWORD
	v_fma_f16 v1, v13, v0, -v1
	v_mul_f16_sdwa v0, v13, v0 dst_sel:DWORD dst_unused:UNUSED_PAD src0_sel:WORD_1 src1_sel:DWORD
	v_fma_f16 v4, v10, v9, v4
	v_fma_f16 v0, v13, v12, v0
	v_pack_b32_f16 v2, v4, v5
	v_pack_b32_f16 v0, v0, v1
	ds_write2_b32 v6, v2, v0 offset0:147 offset1:196
	s_waitcnt vmcnt(10)
	v_lshrrev_b32_e32 v0, 16, v15
	v_mul_f16_sdwa v1, v14, v0 dst_sel:DWORD dst_unused:UNUSED_PAD src0_sel:WORD_1 src1_sel:DWORD
	v_mul_f16_sdwa v2, v14, v15 dst_sel:DWORD dst_unused:UNUSED_PAD src0_sel:WORD_1 src1_sel:DWORD
	v_fma_f16 v1, v14, v15, v1
	v_fma_f16 v0, v14, v0, -v2
	v_pack_b32_f16 v0, v1, v0
	s_waitcnt vmcnt(9)
	v_lshrrev_b32_e32 v1, 16, v16
	s_waitcnt vmcnt(8)
	v_mul_f16_sdwa v2, v17, v1 dst_sel:DWORD dst_unused:UNUSED_PAD src0_sel:WORD_1 src1_sel:DWORD
	v_mul_f16_sdwa v3, v17, v16 dst_sel:DWORD dst_unused:UNUSED_PAD src0_sel:WORD_1 src1_sel:DWORD
	v_fma_f16 v2, v17, v16, v2
	v_fma_f16 v1, v17, v1, -v3
	v_pack_b32_f16 v1, v2, v1
	v_add_u32_e32 v2, 0x200, v6
	ds_write2_b32 v2, v0, v1 offset0:117 offset1:166
	s_waitcnt vmcnt(6)
	v_lshrrev_b32_e32 v0, 16, v19
	v_mul_f16_sdwa v1, v18, v0 dst_sel:DWORD dst_unused:UNUSED_PAD src0_sel:WORD_1 src1_sel:DWORD
	v_mul_f16_sdwa v2, v18, v19 dst_sel:DWORD dst_unused:UNUSED_PAD src0_sel:WORD_1 src1_sel:DWORD
	v_fma_f16 v1, v18, v19, v1
	v_fma_f16 v0, v18, v0, -v2
	v_pack_b32_f16 v0, v1, v0
	s_waitcnt vmcnt(5)
	v_lshrrev_b32_e32 v1, 16, v20
	s_waitcnt vmcnt(4)
	v_mul_f16_sdwa v2, v21, v1 dst_sel:DWORD dst_unused:UNUSED_PAD src0_sel:WORD_1 src1_sel:DWORD
	v_mul_f16_sdwa v3, v21, v20 dst_sel:DWORD dst_unused:UNUSED_PAD src0_sel:WORD_1 src1_sel:DWORD
	v_fma_f16 v2, v21, v20, v2
	v_fma_f16 v1, v21, v1, -v3
	v_pack_b32_f16 v1, v2, v1
	v_add_u32_e32 v2, 0x400, v6
	ds_write2_b32 v2, v0, v1 offset0:87 offset1:136
	s_waitcnt vmcnt(3)
	v_lshrrev_b32_e32 v0, 16, v25
	s_waitcnt vmcnt(2)
	v_mul_f16_sdwa v1, v27, v0 dst_sel:DWORD dst_unused:UNUSED_PAD src0_sel:WORD_1 src1_sel:DWORD
	v_mul_f16_sdwa v3, v27, v25 dst_sel:DWORD dst_unused:UNUSED_PAD src0_sel:WORD_1 src1_sel:DWORD
	v_fma_f16 v1, v27, v25, v1
	v_fma_f16 v0, v27, v0, -v3
	v_pack_b32_f16 v0, v1, v0
	s_waitcnt vmcnt(1)
	v_lshrrev_b32_e32 v1, 16, v22
	s_waitcnt vmcnt(0)
	v_mul_f16_sdwa v3, v28, v1 dst_sel:DWORD dst_unused:UNUSED_PAD src0_sel:WORD_1 src1_sel:DWORD
	v_mul_f16_sdwa v4, v28, v22 dst_sel:DWORD dst_unused:UNUSED_PAD src0_sel:WORD_1 src1_sel:DWORD
	v_fma_f16 v3, v28, v22, v3
	v_fma_f16 v1, v28, v1, -v4
	v_pack_b32_f16 v1, v3, v1
	ds_write2_b32 v2, v0, v1 offset0:185 offset1:234
.LBB0_3:
	s_or_b64 exec, exec, s[8:9]
	s_load_dwordx2 s[2:3], s[4:5], 0x20
	s_load_dwordx2 s[0:1], s[4:5], 0x8
	s_waitcnt lgkmcnt(0)
	s_barrier
	s_waitcnt lgkmcnt(0)
                                        ; implicit-def: $vgpr0
                                        ; implicit-def: $vgpr4
                                        ; implicit-def: $vgpr20
                                        ; implicit-def: $vgpr21
                                        ; implicit-def: $vgpr13
                                        ; implicit-def: $vgpr25
                                        ; implicit-def: $vgpr33
                                        ; implicit-def: $vgpr15
                                        ; implicit-def: $vgpr34
                                        ; implicit-def: $vgpr7
                                        ; implicit-def: $vgpr22
                                        ; implicit-def: $vgpr19
                                        ; implicit-def: $vgpr3
                                        ; implicit-def: $vgpr16
                                        ; implicit-def: $vgpr17
                                        ; implicit-def: $vgpr18
	s_and_saveexec_b64 s[4:5], vcc
	s_cbranch_execz .LBB0_5
; %bb.4:
	v_lshl_add_u32 v9, v11, 2, v23
	v_add_u32_e32 v10, 0x400, v9
	ds_read2_b32 v[0:1], v9 offset1:49
	ds_read2_b32 v[2:3], v9 offset0:98 offset1:147
	ds_read2_b32 v[6:7], v9 offset0:196 offset1:245
	;; [unrolled: 1-line block ×4, first 2 shown]
	ds_read_b32 v15, v9 offset:1960
	s_waitcnt lgkmcnt(5)
	v_lshrrev_b32_e32 v18, 16, v1
	s_waitcnt lgkmcnt(4)
	v_lshrrev_b32_e32 v17, 16, v2
	v_lshrrev_b32_e32 v16, 16, v3
	s_waitcnt lgkmcnt(3)
	v_lshrrev_b32_e32 v19, 16, v6
	;; [unrolled: 3-line block ×5, first 2 shown]
.LBB0_5:
	s_or_b64 exec, exec, s[4:5]
	v_sub_f16_e32 v45, v18, v34
	v_add_f16_e32 v35, v15, v1
	s_movk_i32 s8, 0x36a6
	v_mul_f16_e32 v37, 0xbb47, v45
	v_sub_f16_e32 v48, v17, v33
	v_fma_f16 v9, v35, s8, v37
	s_mov_b32 s9, 0xb93d
	v_add_f16_e32 v36, v14, v2
	v_mul_f16_e32 v39, 0xba0c, v48
	v_add_f16_e32 v9, v9, v0
	v_fma_f16 v10, v36, s9, v39
	s_mov_b32 s10, 0xb08e
	v_mul_f16_e32 v41, 0xbbeb, v45
	v_add_f16_e32 v9, v10, v9
	v_fma_f16 v10, v35, s10, v41
	s_mov_b32 s11, 0xbbad
	v_mul_f16_e32 v42, 0x3482, v48
	v_sub_f16_e32 v55, v16, v25
	v_add_f16_e32 v10, v10, v0
	v_fma_f16 v12, v36, s11, v42
	v_add_f16_e32 v38, v13, v3
	v_mul_f16_e32 v43, 0x3482, v55
	v_add_f16_e32 v10, v12, v10
	v_fma_f16 v12, v38, s11, v43
	v_mul_f16_e32 v46, 0x3b47, v55
	v_sub_f16_e32 v61, v19, v21
	v_add_f16_e32 v9, v12, v9
	v_fma_f16 v12, v38, s8, v46
	v_add_f16_e32 v40, v5, v6
	v_mul_f16_e32 v47, 0x3beb, v61
	v_add_f16_e32 v10, v12, v10
	v_fma_f16 v12, v40, s10, v47
	s_movk_i32 s14, 0x3abb
	v_mul_f16_e32 v53, 0xb853, v61
	v_sub_f16_e32 v68, v22, v20
	v_add_f16_e32 v9, v12, v9
	v_fma_f16 v12, v40, s14, v53
	v_add_f16_e32 v44, v4, v7
	v_mul_f16_e32 v54, 0x3853, v68
	v_add_f16_e32 v12, v12, v10
	v_fma_f16 v10, v44, s14, v54
	v_mul_f16_e32 v58, 0xba0c, v68
	v_add_f16_e32 v10, v10, v9
	v_fma_f16 v9, v44, s9, v58
	;; [unrolled: 3-line block ×3, first 2 shown]
	v_mul_f16_e32 v52, 0xbb47, v48
	v_sub_f16_e32 v84, v1, v15
	v_add_f16_e32 v12, v12, v0
	v_fma_f16 v27, v36, s8, v52
	v_add_f16_e32 v49, v34, v18
	v_mul_f16_e32 v56, 0xb853, v84
	v_sub_f16_e32 v85, v2, v14
	v_add_f16_e32 v12, v27, v12
	v_fma_f16 v27, v49, s14, -v56
	v_add_f16_e32 v50, v33, v17
	v_mul_f16_e32 v57, 0xbb47, v85
	v_add_f16_sdwa v27, v27, v0 dst_sel:DWORD dst_unused:UNUSED_PAD src0_sel:DWORD src1_sel:WORD_1
	v_fma_f16 v28, v50, s8, -v57
	v_mul_f16_e32 v62, 0xbb47, v84
	v_add_f16_e32 v27, v28, v27
	v_fma_f16 v28, v49, s8, -v62
	v_mul_f16_e32 v63, 0xba0c, v85
	v_add_f16_sdwa v28, v28, v0 dst_sel:DWORD dst_unused:UNUSED_PAD src0_sel:DWORD src1_sel:WORD_1
	v_fma_f16 v29, v50, s9, -v63
	v_mul_f16_e32 v70, 0xbbeb, v84
	v_add_f16_e32 v28, v29, v28
	v_fma_f16 v29, v49, s10, -v70
	v_mul_f16_e32 v72, 0x3482, v85
	v_add_f16_sdwa v29, v29, v0 dst_sel:DWORD dst_unused:UNUSED_PAD src0_sel:DWORD src1_sel:WORD_1
	v_fma_f16 v30, v50, s11, -v72
	v_mul_f16_e32 v75, 0xba0c, v45
	v_add_f16_e32 v29, v30, v29
	v_fma_f16 v30, v35, s9, v75
	v_mul_f16_e32 v76, 0x3beb, v48
	v_add_f16_e32 v30, v30, v0
	v_fma_f16 v31, v36, s10, v76
	v_mul_f16_e32 v81, 0xba0c, v84
	v_add_f16_e32 v30, v31, v30
	v_fma_f16 v31, v49, s9, -v81
	v_mul_f16_e32 v82, 0x3beb, v85
	v_add_f16_sdwa v31, v31, v0 dst_sel:DWORD dst_unused:UNUSED_PAD src0_sel:DWORD src1_sel:WORD_1
	v_fma_f16 v32, v50, s10, -v82
	v_mul_f16_e32 v60, 0xbbeb, v55
	v_sub_f16_e32 v90, v3, v13
	v_add_f16_e32 v31, v32, v31
	v_fma_f16 v32, v38, s10, v60
	v_add_f16_e32 v59, v25, v16
	v_mul_f16_e32 v65, 0xbbeb, v90
	v_add_f16_e32 v12, v32, v12
	v_fma_f16 v32, v59, s10, -v65
	v_mul_f16_e32 v73, 0x3482, v90
	v_add_f16_e32 v27, v32, v27
	v_fma_f16 v32, v59, s11, -v73
	;; [unrolled: 3-line block ×3, first 2 shown]
	v_mul_f16_e32 v79, 0xb853, v55
	v_add_f16_e32 v29, v32, v29
	v_fma_f16 v32, v38, s14, v79
	v_mul_f16_e32 v87, 0xb853, v90
	v_add_f16_e32 v30, v32, v30
	v_fma_f16 v32, v59, s14, -v87
	v_mul_f16_e32 v66, 0xba0c, v61
	v_sub_f16_e32 v93, v6, v5
	v_add_f16_e32 v31, v32, v31
	v_fma_f16 v32, v40, s9, v66
	v_add_f16_e32 v64, v21, v19
	v_mul_f16_e32 v69, 0xba0c, v93
	v_add_f16_e32 v12, v32, v12
	v_fma_f16 v32, v64, s9, -v69
	v_mul_f16_e32 v77, 0x3beb, v93
	v_add_f16_e32 v27, v32, v27
	v_fma_f16 v32, v64, s10, -v77
	;; [unrolled: 3-line block ×3, first 2 shown]
	v_mul_f16_e32 v86, 0xb482, v61
	v_add_f16_e32 v91, v28, v29
	v_fma_f16 v28, v40, s11, v86
	v_mul_f16_e32 v89, 0xb482, v93
	v_add_f16_e32 v95, v28, v30
	v_fma_f16 v28, v64, s11, -v89
	v_mul_f16_e32 v71, 0xb482, v68
	v_sub_f16_e32 v94, v7, v4
	v_add_f16_e32 v96, v28, v31
	v_fma_f16 v28, v44, s11, v71
	v_add_f16_e32 v67, v20, v22
	v_mul_f16_e32 v74, 0xb482, v94
	v_add_f16_e32 v28, v28, v12
	v_fma_f16 v12, v67, s11, -v74
	v_mul_f16_e32 v80, 0x3853, v94
	v_add_f16_e32 v29, v12, v27
	v_fma_f16 v12, v67, s14, -v80
	;; [unrolled: 3-line block ×4, first 2 shown]
	v_mul_f16_e32 v91, 0x3b47, v68
	v_add_f16_e32 v32, v12, v96
	v_fma_f16 v12, v44, s8, v91
	v_add_f16_e32 v12, v12, v95
	v_mul_lo_u16_e32 v27, 11, v24
	s_barrier
	s_and_saveexec_b64 s[4:5], vcc
	s_cbranch_execz .LBB0_7
; %bb.6:
	v_mul_f16_e32 v102, 0xb93d, v49
	v_mul_f16_e32 v97, 0x36a6, v35
	;; [unrolled: 1-line block ×3, first 2 shown]
	v_add_f16_e32 v81, v81, v102
	v_mul_f16_e32 v99, 0xb08e, v35
	v_mul_f16_e32 v105, 0xb93d, v36
	v_mul_f16_e32 v118, 0x3abb, v59
	v_add_f16_e32 v82, v82, v110
	v_add_f16_sdwa v81, v81, v0 dst_sel:DWORD dst_unused:UNUSED_PAD src0_sel:DWORD src1_sel:WORD_1
	v_sub_f16_e32 v37, v97, v37
	v_mul_f16_e32 v107, 0xbbad, v36
	v_mul_f16_e32 v113, 0xbbad, v38
	v_mul_f16_e32 v110, 0xbbad, v64
	v_add_f16_e32 v81, v82, v81
	v_add_f16_e32 v87, v87, v118
	v_sub_f16_e32 v41, v99, v41
	v_add_f16_e32 v37, v37, v0
	v_sub_f16_e32 v39, v105, v39
	v_mul_f16_e32 v115, 0x36a6, v38
	v_mul_f16_e32 v121, 0xb08e, v40
	v_add_f16_e32 v81, v87, v81
	v_add_f16_e32 v89, v89, v110
	;; [unrolled: 1-line block ×3, first 2 shown]
	v_sub_f16_e32 v42, v107, v42
	v_add_f16_e32 v37, v39, v37
	v_sub_f16_e32 v39, v113, v43
	v_mul_f16_e32 v123, 0x3abb, v40
	v_mul_f16_e32 v87, 0x3abb, v44
	v_add_f16_e32 v81, v89, v81
	v_mul_f16_e32 v89, 0x36a6, v67
	v_add_f16_e32 v41, v42, v41
	v_sub_f16_e32 v42, v115, v46
	v_add_f16_e32 v37, v39, v37
	v_sub_f16_e32 v39, v121, v47
	v_mul_f16_e32 v96, 0x3abb, v49
	v_add_f16_e32 v89, v92, v89
	v_mul_f16_e32 v92, 0xb93d, v44
	v_add_f16_e32 v41, v42, v41
	v_sub_f16_e32 v42, v123, v53
	v_add_f16_e32 v37, v39, v37
	v_sub_f16_e32 v39, v87, v54
	v_mul_f16_e32 v98, 0x36a6, v49
	v_mul_f16_e32 v104, 0x36a6, v50
	v_add_f16_e32 v41, v42, v41
	v_sub_f16_e32 v42, v92, v58
	v_add_f16_e32 v37, v39, v37
	v_add_f16_e32 v39, v56, v96
	v_mul_f16_e32 v106, 0xb93d, v50
	v_mul_f16_e32 v112, 0xb08e, v59
	v_add_f16_e32 v41, v42, v41
	v_add_f16_e32 v42, v62, v98
	v_add_f16_sdwa v39, v39, v0 dst_sel:DWORD dst_unused:UNUSED_PAD src0_sel:DWORD src1_sel:WORD_1
	v_add_f16_e32 v43, v57, v104
	v_mul_f16_e32 v114, 0xbbad, v59
	v_mul_f16_e32 v120, 0xb93d, v64
	v_add_f16_sdwa v42, v42, v0 dst_sel:DWORD dst_unused:UNUSED_PAD src0_sel:DWORD src1_sel:WORD_1
	v_add_f16_e32 v46, v63, v106
	v_add_f16_e32 v39, v43, v39
	v_add_f16_e32 v43, v65, v112
	v_mul_f16_e32 v122, 0xb08e, v64
	v_mul_f16_e32 v118, 0xbbad, v67
	v_add_f16_e32 v42, v46, v42
	v_add_f16_e32 v46, v73, v114
	;; [unrolled: 1-line block ×4, first 2 shown]
	v_mul_f16_e32 v95, 0x3abb, v35
	v_mul_f16_e32 v84, 0xb482, v84
	;; [unrolled: 1-line block ×3, first 2 shown]
	v_add_f16_e32 v42, v46, v42
	v_add_f16_e32 v46, v77, v122
	;; [unrolled: 1-line block ×4, first 2 shown]
	v_mul_f16_e32 v103, 0x36a6, v36
	v_fma_f16 v124, v49, s11, v84
	v_mul_f16_e32 v85, 0x3853, v85
	v_add_f16_e32 v42, v46, v42
	v_add_f16_e32 v46, v80, v110
	;; [unrolled: 1-line block ×3, first 2 shown]
	v_sub_f16_e32 v43, v95, v51
	v_mul_f16_e32 v111, 0xb08e, v38
	v_add_f16_sdwa v124, v124, v0 dst_sel:DWORD dst_unused:UNUSED_PAD src0_sel:DWORD src1_sel:WORD_1
	v_fma_f16 v125, v50, s14, v85
	v_mul_f16_e32 v90, 0xba0c, v90
	v_add_f16_e32 v42, v46, v42
	v_add_f16_e32 v43, v43, v0
	v_sub_f16_e32 v46, v103, v52
	v_mul_f16_e32 v119, 0xb93d, v40
	v_add_f16_e32 v124, v125, v124
	v_fma_f16 v125, v59, s9, v90
	v_mul_f16_e32 v93, 0x3b47, v93
	v_add_f16_e32 v43, v46, v43
	v_sub_f16_e32 v46, v111, v60
	v_add_f16_e32 v124, v125, v124
	v_fma_f16 v125, v64, s8, v93
	v_mul_f16_e32 v94, 0xbbeb, v94
	v_mul_f16_e32 v82, 0xbbad, v44
	v_add_f16_e32 v43, v46, v43
	v_sub_f16_e32 v46, v119, v66
	v_mul_f16_e32 v100, 0xb08e, v49
	v_mul_f16_e32 v101, 0xb93d, v35
	v_add_f16_e32 v124, v125, v124
	v_fma_f16 v125, v67, s10, v94
	v_mul_f16_e32 v45, 0xb482, v45
	v_add_f16_e32 v43, v46, v43
	v_sub_f16_e32 v46, v82, v71
	v_add_f16_e32 v124, v125, v124
	v_fma_f16 v125, v35, s11, -v45
	v_sub_f16_e32 v75, v101, v75
	v_add_f16_e32 v70, v70, v100
	v_add_f16_e32 v43, v46, v43
	v_fma_f16 v46, v49, s11, -v84
	v_fma_f16 v35, v35, s11, v45
	v_add_f16_e32 v125, v125, v0
	v_add_f16_e32 v75, v75, v0
	v_add_f16_sdwa v70, v70, v0 dst_sel:DWORD dst_unused:UNUSED_PAD src0_sel:DWORD src1_sel:WORD_1
	v_add_f16_sdwa v46, v46, v0 dst_sel:DWORD dst_unused:UNUSED_PAD src0_sel:DWORD src1_sel:WORD_1
	v_add_f16_e32 v35, v35, v0
	v_add_f16_sdwa v18, v18, v0 dst_sel:DWORD dst_unused:UNUSED_PAD src0_sel:DWORD src1_sel:WORD_1
	v_add_f16_e32 v0, v1, v0
	v_add_f16_e32 v17, v17, v18
	;; [unrolled: 1-line block ×5, first 2 shown]
	v_mul_f16_e32 v48, 0x3853, v48
	v_add_f16_e32 v16, v19, v16
	v_add_f16_e32 v0, v6, v0
	v_fma_f16 v126, v36, s14, -v48
	v_mul_f16_e32 v55, 0xba0c, v55
	v_add_f16_e32 v16, v22, v16
	v_add_f16_e32 v0, v7, v0
	v_add_f16_e32 v125, v126, v125
	v_fma_f16 v126, v38, s9, -v55
	v_mul_f16_e32 v61, 0x3b47, v61
	v_add_f16_e32 v16, v20, v16
	v_add_f16_e32 v0, v4, v0
	v_mul_f16_e32 v108, 0xbbad, v50
	v_mul_f16_e32 v109, 0xb08e, v36
	v_add_f16_e32 v125, v126, v125
	v_fma_f16 v126, v40, s8, -v61
	v_mul_f16_e32 v68, 0xbbeb, v68
	v_add_f16_e32 v16, v21, v16
	v_add_f16_e32 v0, v5, v0
	v_mul_f16_e32 v116, 0x36a6, v59
	v_mul_f16_e32 v117, 0x3abb, v38
	v_add_f16_e32 v125, v126, v125
	v_fma_f16 v126, v44, s10, -v68
	v_sub_f16_e32 v76, v109, v76
	v_add_f16_e32 v72, v72, v108
	v_add_f16_e32 v16, v25, v16
	v_add_f16_e32 v0, v13, v0
	v_add_f16_e32 v125, v126, v125
	v_mul_f16_e32 v126, 0x3abb, v64
	v_mul_f16_e32 v102, 0xbbad, v40
	v_add_f16_e32 v75, v76, v75
	v_sub_f16_e32 v76, v117, v79
	v_add_f16_e32 v70, v72, v70
	v_add_f16_e32 v72, v78, v116
	v_fma_f16 v47, v50, s14, -v85
	v_fma_f16 v36, v36, s14, v48
	v_add_f16_e32 v16, v33, v16
	v_add_f16_e32 v0, v14, v0
	;; [unrolled: 1-line block ×3, first 2 shown]
	v_mul_f16_e32 v89, 0xb93d, v67
	v_mul_f16_e32 v101, 0x36a6, v44
	v_add_f16_e32 v75, v76, v75
	v_sub_f16_e32 v76, v102, v86
	v_add_f16_e32 v70, v72, v70
	v_add_f16_e32 v72, v83, v126
	;; [unrolled: 1-line block ×3, first 2 shown]
	v_fma_f16 v47, v59, s9, -v90
	v_add_f16_e32 v35, v36, v35
	v_fma_f16 v36, v38, s9, v55
	v_add_f16_sdwa v16, v34, v16 dst_sel:WORD_1 dst_unused:UNUSED_PAD src0_sel:DWORD src1_sel:DWORD
	v_add_f16_e32 v0, v15, v0
	v_add_f16_e32 v75, v76, v75
	v_sub_f16_e32 v76, v101, v91
	v_add_f16_e32 v70, v72, v70
	v_add_f16_e32 v72, v88, v89
	;; [unrolled: 1-line block ×3, first 2 shown]
	v_fma_f16 v47, v64, s8, -v93
	v_add_f16_e32 v35, v36, v35
	v_fma_f16 v36, v40, s8, v61
	v_or_b32_e32 v0, v16, v0
	v_add_lshl_u32 v1, v11, v27, 2
	v_add_f16_e32 v75, v76, v75
	v_add_f16_e32 v70, v72, v70
	;; [unrolled: 1-line block ×3, first 2 shown]
	v_fma_f16 v47, v67, s10, -v94
	v_add_f16_e32 v35, v36, v35
	v_fma_f16 v36, v44, s10, v68
	ds_write_b32 v1, v0
	v_pack_b32_f16 v0, v37, v42
	v_pack_b32_f16 v2, v43, v39
	v_add_f16_e32 v46, v47, v46
	v_add_f16_e32 v35, v36, v35
	ds_write2_b32 v1, v2, v0 offset0:1 offset1:2
	v_pack_b32_f16 v0, v75, v81
	v_pack_b32_f16 v2, v41, v70
	ds_write2_b32 v1, v2, v0 offset0:3 offset1:4
	v_pack_b32_f16 v0, v35, v46
	v_pack_b32_f16 v2, v125, v124
	s_mov_b32 s8, 0x5040100
	ds_write2_b32 v1, v2, v0 offset0:5 offset1:6
	v_perm_b32 v0, v31, v9, s8
	v_perm_b32 v2, v32, v12, s8
	ds_write2_b32 v1, v2, v0 offset0:7 offset1:8
	v_perm_b32 v0, v29, v28, s8
	v_perm_b32 v2, v30, v10, s8
	ds_write2_b32 v1, v2, v0 offset0:9 offset1:10
.LBB0_7:
	s_or_b64 exec, exec, s[4:5]
	s_load_dwordx4 s[8:11], s[2:3], 0x0
	s_movk_i32 s2, 0x75
	v_mul_lo_u16_sdwa v0, v24, s2 dst_sel:DWORD dst_unused:UNUSED_PAD src0_sel:BYTE_0 src1_sel:DWORD
	v_sub_u16_sdwa v1, v24, v0 dst_sel:DWORD dst_unused:UNUSED_PAD src0_sel:DWORD src1_sel:BYTE_1
	v_lshrrev_b16_e32 v1, 1, v1
	v_and_b32_e32 v1, 0x7f, v1
	v_add_u16_sdwa v0, v1, v0 dst_sel:DWORD dst_unused:UNUSED_PAD src0_sel:DWORD src1_sel:BYTE_1
	v_lshrrev_b16_e32 v17, 3, v0
	v_mul_lo_u16_e32 v0, 11, v17
	v_sub_u16_e32 v18, v24, v0
	v_mov_b32_e32 v0, 6
	v_mul_u32_u24_sdwa v0, v18, v0 dst_sel:DWORD dst_unused:UNUSED_PAD src0_sel:BYTE_0 src1_sel:DWORD
	v_lshlrev_b32_e32 v4, 2, v0
	s_waitcnt lgkmcnt(0)
	s_barrier
	global_load_dwordx4 v[0:3], v4, s[0:1]
	global_load_dwordx2 v[13:14], v4, s[0:1] offset:16
	v_add_lshl_u32 v33, v11, v24, 2
	ds_read2_b32 v[4:5], v33 offset1:77
	ds_read2_b32 v[6:7], v33 offset0:154 offset1:231
	v_add_u32_e32 v21, 0x400, v33
	ds_read_b32 v19, v33 offset:1848
	ds_read2_b32 v[15:16], v21 offset0:52 offset1:129
	s_movk_i32 s3, 0x2b26
	s_waitcnt lgkmcnt(3)
	v_lshrrev_b32_e32 v20, 16, v5
	s_waitcnt lgkmcnt(2)
	v_lshrrev_b32_e32 v22, 16, v6
	;; [unrolled: 2-line block ×4, first 2 shown]
	v_lshrrev_b32_e32 v25, 16, v7
	v_lshrrev_b32_e32 v35, 16, v15
	s_movk_i32 s2, 0x3b00
	s_mov_b32 s4, 0xbcab
	s_movk_i32 s5, 0x39e0
	s_mov_b32 s14, 0xb9e0
	;; [unrolled: 2-line block ×3, first 2 shown]
	s_movk_i32 s17, 0x370e
	v_mul_u32_u24_e32 v17, 0x4d, v17
	v_add_u32_sdwa v17, v17, v18 dst_sel:DWORD dst_unused:UNUSED_PAD src0_sel:DWORD src1_sel:BYTE_0
	s_waitcnt vmcnt(0)
	s_barrier
	v_mul_f16_sdwa v37, v20, v0 dst_sel:DWORD dst_unused:UNUSED_PAD src0_sel:DWORD src1_sel:WORD_1
	v_mul_f16_sdwa v38, v5, v0 dst_sel:DWORD dst_unused:UNUSED_PAD src0_sel:DWORD src1_sel:WORD_1
	;; [unrolled: 1-line block ×12, first 2 shown]
	v_fma_f16 v5, v5, v0, -v37
	v_fma_f16 v20, v20, v0, v38
	v_fma_f16 v6, v6, v1, -v39
	v_fma_f16 v22, v22, v1, v40
	;; [unrolled: 2-line block ×6, first 2 shown]
	v_add_f16_e32 v37, v5, v19
	v_add_f16_e32 v38, v20, v34
	v_sub_f16_e32 v5, v5, v19
	v_sub_f16_e32 v19, v20, v34
	v_add_f16_e32 v20, v6, v16
	v_add_f16_e32 v34, v22, v36
	v_sub_f16_e32 v6, v6, v16
	v_sub_f16_e32 v16, v22, v36
	;; [unrolled: 4-line block ×4, first 2 shown]
	v_sub_f16_e32 v37, v37, v22
	v_sub_f16_e32 v38, v38, v36
	;; [unrolled: 1-line block ×3, first 2 shown]
	v_add_f16_e32 v42, v15, v16
	v_sub_f16_e32 v44, v15, v16
	v_add_f16_e32 v22, v22, v25
	v_add_f16_e32 v25, v36, v35
	v_sub_f16_e32 v34, v36, v34
	v_add_f16_e32 v41, v7, v6
	v_sub_f16_e32 v43, v7, v6
	v_sub_f16_e32 v15, v19, v15
	;; [unrolled: 1-line block ×4, first 2 shown]
	v_add_f16_e32 v19, v42, v19
	v_mul_f16_e32 v35, 0x3a52, v37
	v_mul_f16_e32 v36, 0x3a52, v38
	;; [unrolled: 1-line block ×4, first 2 shown]
	v_add_f16_e32 v44, v22, v4
	v_add_f16_sdwa v4, v25, v4 dst_sel:DWORD dst_unused:UNUSED_PAD src0_sel:DWORD src1_sel:WORD_1
	v_sub_f16_e32 v7, v5, v7
	v_add_f16_e32 v5, v41, v5
	v_mul_f16_e32 v38, 0x2b26, v34
	v_mul_f16_e32 v41, 0xb846, v43
	v_mul_f16_e32 v43, 0x3b00, v6
	v_lshlrev_b32_e32 v45, 16, v4
	v_mul_f16_e32 v46, 0x3b00, v16
	v_fma_f16 v22, v22, s4, v44
	v_fma_f16 v4, v25, s4, v4
	;; [unrolled: 1-line block ×3, first 2 shown]
	v_fma_f16 v34, v39, s5, -v37
	v_fma_f16 v16, v16, s2, -v42
	v_fma_f16 v20, v20, s3, v35
	v_fma_f16 v37, v40, s5, -v38
	v_fma_f16 v35, v39, s14, -v35
	;; [unrolled: 1-line block ×3, first 2 shown]
	v_fma_f16 v38, v7, s15, v41
	v_fma_f16 v39, v15, s15, v42
	v_fma_f16 v6, v6, s2, -v41
	v_fma_f16 v7, v7, s16, -v43
	;; [unrolled: 1-line block ×3, first 2 shown]
	v_add_f16_e32 v34, v34, v22
	v_fma_f16 v16, v19, s17, v16
	v_add_f16_e32 v20, v20, v22
	v_add_f16_e32 v25, v25, v4
	;; [unrolled: 1-line block ×5, first 2 shown]
	v_fma_f16 v35, v5, s17, v38
	v_fma_f16 v36, v19, s17, v39
	;; [unrolled: 1-line block ×5, first 2 shown]
	v_sub_f16_e32 v40, v34, v16
	v_add_f16_e32 v16, v16, v34
	v_add_lshl_u32 v34, v11, v17, 2
	v_mad_u64_u32 v[17:18], s[0:1], v24, 24, s[0:1]
	v_add_f16_e32 v15, v36, v20
	v_sub_f16_e32 v19, v25, v35
	v_add_f16_e32 v38, v7, v22
	v_sub_f16_e32 v39, v4, v5
	;; [unrolled: 2-line block ×3, first 2 shown]
	v_sub_f16_e32 v7, v22, v7
	v_add_f16_e32 v4, v5, v4
	v_or_b32_e32 v45, v45, v44
	v_sub_f16_e32 v5, v20, v36
	v_add_f16_e32 v20, v35, v25
	v_pack_b32_f16 v11, v15, v19
	v_pack_b32_f16 v6, v16, v6
	;; [unrolled: 1-line block ×3, first 2 shown]
	ds_write2_b32 v34, v45, v11 offset1:11
	v_pack_b32_f16 v11, v38, v39
	v_pack_b32_f16 v15, v40, v41
	ds_write2_b32 v34, v6, v4 offset0:44 offset1:55
	v_pack_b32_f16 v4, v5, v20
	ds_write2_b32 v34, v11, v15 offset0:22 offset1:33
	ds_write_b32 v34, v4 offset:264
	s_waitcnt lgkmcnt(0)
	s_barrier
	global_load_dwordx4 v[4:7], v[17:18], off offset:264
	global_load_dwordx2 v[15:16], v[17:18], off offset:280
	ds_read2_b32 v[17:18], v33 offset1:77
	ds_read2_b32 v[19:20], v33 offset0:154 offset1:231
	ds_read2_b32 v[21:22], v21 offset0:52 offset1:129
	ds_read_b32 v11, v33 offset:1848
	s_waitcnt lgkmcnt(3)
	v_lshrrev_b32_e32 v25, 16, v18
	s_waitcnt lgkmcnt(2)
	v_lshrrev_b32_e32 v35, 16, v19
	v_lshrrev_b32_e32 v36, 16, v20
	s_waitcnt lgkmcnt(1)
	v_lshrrev_b32_e32 v37, 16, v21
	;; [unrolled: 3-line block ×3, first 2 shown]
	s_waitcnt vmcnt(1)
	v_mul_f16_sdwa v40, v25, v4 dst_sel:DWORD dst_unused:UNUSED_PAD src0_sel:DWORD src1_sel:WORD_1
	v_mul_f16_sdwa v42, v35, v5 dst_sel:DWORD dst_unused:UNUSED_PAD src0_sel:DWORD src1_sel:WORD_1
	v_mul_f16_sdwa v41, v18, v4 dst_sel:DWORD dst_unused:UNUSED_PAD src0_sel:DWORD src1_sel:WORD_1
	v_fma_f16 v18, v18, v4, -v40
	v_fma_f16 v40, v19, v5, -v42
	v_mul_f16_sdwa v19, v19, v5 dst_sel:DWORD dst_unused:UNUSED_PAD src0_sel:DWORD src1_sel:WORD_1
	v_fma_f16 v19, v35, v5, v19
	v_mul_f16_sdwa v35, v36, v6 dst_sel:DWORD dst_unused:UNUSED_PAD src0_sel:DWORD src1_sel:WORD_1
	v_fma_f16 v35, v20, v6, -v35
	v_mul_f16_sdwa v20, v20, v6 dst_sel:DWORD dst_unused:UNUSED_PAD src0_sel:DWORD src1_sel:WORD_1
	v_fma_f16 v20, v36, v6, v20
	v_mul_f16_sdwa v36, v37, v7 dst_sel:DWORD dst_unused:UNUSED_PAD src0_sel:DWORD src1_sel:WORD_1
	v_fma_f16 v36, v21, v7, -v36
	v_mul_f16_sdwa v21, v21, v7 dst_sel:DWORD dst_unused:UNUSED_PAD src0_sel:DWORD src1_sel:WORD_1
	v_fma_f16 v21, v37, v7, v21
	s_waitcnt vmcnt(0)
	v_mul_f16_sdwa v37, v38, v15 dst_sel:DWORD dst_unused:UNUSED_PAD src0_sel:DWORD src1_sel:WORD_1
	v_fma_f16 v37, v22, v15, -v37
	v_mul_f16_sdwa v22, v22, v15 dst_sel:DWORD dst_unused:UNUSED_PAD src0_sel:DWORD src1_sel:WORD_1
	v_fma_f16 v22, v38, v15, v22
	v_mul_f16_sdwa v38, v39, v16 dst_sel:DWORD dst_unused:UNUSED_PAD src0_sel:DWORD src1_sel:WORD_1
	v_fma_f16 v38, v11, v16, -v38
	v_mul_f16_sdwa v11, v11, v16 dst_sel:DWORD dst_unused:UNUSED_PAD src0_sel:DWORD src1_sel:WORD_1
	v_fma_f16 v25, v25, v4, v41
	v_fma_f16 v11, v39, v16, v11
	v_add_f16_e32 v39, v18, v38
	v_add_f16_e32 v41, v25, v11
	v_sub_f16_e32 v18, v18, v38
	v_sub_f16_e32 v11, v25, v11
	v_add_f16_e32 v25, v40, v37
	v_add_f16_e32 v38, v19, v22
	v_sub_f16_e32 v37, v40, v37
	v_sub_f16_e32 v19, v19, v22
	v_add_f16_e32 v22, v35, v36
	v_add_f16_e32 v40, v20, v21
	v_sub_f16_e32 v35, v36, v35
	v_sub_f16_e32 v20, v21, v20
	v_add_f16_e32 v21, v25, v39
	v_add_f16_e32 v36, v38, v41
	v_sub_f16_e32 v42, v25, v39
	v_sub_f16_e32 v39, v39, v22
	v_sub_f16_e32 v25, v22, v25
	v_add_f16_e32 v21, v22, v21
	v_add_f16_e32 v22, v40, v36
	v_sub_f16_e32 v43, v38, v41
	v_sub_f16_e32 v41, v41, v40
	;; [unrolled: 1-line block ×3, first 2 shown]
	v_add_f16_e32 v44, v35, v37
	v_add_f16_e32 v45, v20, v19
	v_sub_f16_e32 v46, v35, v37
	v_sub_f16_e32 v47, v20, v19
	v_add_f16_sdwa v40, v22, v17 dst_sel:DWORD dst_unused:UNUSED_PAD src0_sel:DWORD src1_sel:WORD_1
	v_sub_f16_e32 v35, v18, v35
	v_sub_f16_e32 v20, v11, v20
	;; [unrolled: 1-line block ×4, first 2 shown]
	v_add_f16_e32 v18, v44, v18
	v_add_f16_e32 v11, v45, v11
	;; [unrolled: 1-line block ×3, first 2 shown]
	v_lshlrev_b32_e32 v17, 16, v40
	v_mul_f16_e32 v39, 0x3a52, v39
	v_mul_f16_e32 v41, 0x3a52, v41
	;; [unrolled: 1-line block ×6, first 2 shown]
	v_or_b32_e32 v17, v17, v36
	v_mul_f16_e32 v48, 0x3b00, v37
	v_mul_f16_e32 v49, 0x3b00, v19
	v_fma_f16 v21, v21, s4, v36
	v_fma_f16 v22, v22, s4, v40
	;; [unrolled: 1-line block ×4, first 2 shown]
	v_fma_f16 v38, v42, s5, -v44
	v_fma_f16 v40, v43, s5, -v45
	;; [unrolled: 1-line block ×4, first 2 shown]
	v_fma_f16 v42, v35, s15, v46
	v_fma_f16 v43, v20, s15, v47
	v_fma_f16 v37, v37, s2, -v46
	v_fma_f16 v19, v19, s2, -v47
	;; [unrolled: 1-line block ×4, first 2 shown]
	v_add_f16_e32 v25, v25, v21
	v_add_f16_e32 v44, v36, v22
	v_fma_f16 v42, v18, s17, v42
	v_fma_f16 v43, v11, s17, v43
	v_add_f16_e32 v38, v38, v21
	v_add_f16_e32 v40, v40, v22
	;; [unrolled: 1-line block ×4, first 2 shown]
	v_fma_f16 v22, v18, s17, v37
	v_fma_f16 v21, v11, s17, v19
	;; [unrolled: 1-line block ×4, first 2 shown]
	v_add_f16_e32 v18, v43, v25
	v_sub_f16_e32 v35, v44, v42
	v_add_f16_e32 v19, v11, v39
	v_sub_f16_e32 v36, v41, v45
	v_sub_f16_e32 v20, v38, v21
	v_add_f16_e32 v37, v22, v40
	v_add_f16_e32 v21, v21, v38
	v_sub_f16_e32 v38, v40, v22
	v_sub_f16_e32 v22, v39, v11
	v_add_f16_e32 v39, v45, v41
	v_sub_f16_e32 v11, v25, v43
	v_lshl_add_u32 v25, v24, 2, v26
	v_pack_b32_f16 v41, v18, v35
	v_add_f16_e32 v40, v42, v44
	ds_write2_b32 v25, v17, v41 offset1:77
	v_pack_b32_f16 v41, v19, v36
	v_pack_b32_f16 v42, v20, v37
	ds_write2_b32 v25, v41, v42 offset0:154 offset1:231
	v_pack_b32_f16 v42, v21, v38
	v_pack_b32_f16 v43, v22, v39
	v_add_u32_e32 v41, 0x400, v25
	ds_write2_b32 v41, v42, v43 offset0:52 offset1:129
	v_pack_b32_f16 v42, v11, v40
	ds_write_b32 v25, v42 offset:1848
	s_waitcnt lgkmcnt(0)
	s_barrier
	s_and_saveexec_b64 s[0:1], vcc
	s_cbranch_execz .LBB0_9
; %bb.8:
	global_load_dword v52, v23, s[6:7] offset:2156
	s_add_u32 s2, s6, 0x86c
	s_addc_u32 s3, s7, 0
	global_load_dword v53, v23, s[2:3] offset:196
	global_load_dword v54, v23, s[2:3] offset:392
	global_load_dword v55, v23, s[2:3] offset:588
	global_load_dword v56, v23, s[2:3] offset:784
	global_load_dword v57, v23, s[2:3] offset:980
	global_load_dword v58, v23, s[2:3] offset:1176
	global_load_dword v59, v23, s[2:3] offset:1372
	global_load_dword v60, v23, s[2:3] offset:1568
	global_load_dword v61, v23, s[2:3] offset:1764
	global_load_dword v62, v23, s[2:3] offset:1960
	ds_read2_b32 v[42:43], v25 offset1:49
	ds_read2_b32 v[44:45], v25 offset0:98 offset1:147
	ds_read2_b32 v[46:47], v25 offset0:196 offset1:245
	;; [unrolled: 1-line block ×4, first 2 shown]
	ds_read_b32 v63, v25 offset:1960
	s_waitcnt lgkmcnt(5)
	v_lshrrev_b32_e32 v64, 16, v42
	v_lshrrev_b32_e32 v65, 16, v43
	s_waitcnt lgkmcnt(4)
	v_lshrrev_b32_e32 v66, 16, v44
	v_lshrrev_b32_e32 v67, 16, v45
	;; [unrolled: 3-line block ×5, first 2 shown]
	s_waitcnt lgkmcnt(0)
	v_lshrrev_b32_e32 v74, 16, v63
	s_waitcnt vmcnt(7)
	v_mul_f16_sdwa v77, v67, v55 dst_sel:DWORD dst_unused:UNUSED_PAD src0_sel:DWORD src1_sel:WORD_1
	v_mul_f16_sdwa v78, v45, v55 dst_sel:DWORD dst_unused:UNUSED_PAD src0_sel:DWORD src1_sel:WORD_1
	s_waitcnt vmcnt(6)
	v_mul_f16_sdwa v79, v68, v56 dst_sel:DWORD dst_unused:UNUSED_PAD src0_sel:DWORD src1_sel:WORD_1
	v_mul_f16_sdwa v80, v46, v56 dst_sel:DWORD dst_unused:UNUSED_PAD src0_sel:DWORD src1_sel:WORD_1
	;; [unrolled: 1-line block ×4, first 2 shown]
	v_fma_f16 v42, v42, v52, -v75
	v_fma_f16 v52, v64, v52, v76
	v_pack_b32_f16 v42, v42, v52
	v_mul_f16_sdwa v52, v65, v53 dst_sel:DWORD dst_unused:UNUSED_PAD src0_sel:DWORD src1_sel:WORD_1
	v_mul_f16_sdwa v64, v43, v53 dst_sel:DWORD dst_unused:UNUSED_PAD src0_sel:DWORD src1_sel:WORD_1
	v_mul_f16_sdwa v75, v66, v54 dst_sel:DWORD dst_unused:UNUSED_PAD src0_sel:DWORD src1_sel:WORD_1
	v_mul_f16_sdwa v76, v44, v54 dst_sel:DWORD dst_unused:UNUSED_PAD src0_sel:DWORD src1_sel:WORD_1
	s_waitcnt vmcnt(5)
	v_mul_f16_sdwa v81, v69, v57 dst_sel:DWORD dst_unused:UNUSED_PAD src0_sel:DWORD src1_sel:WORD_1
	v_mul_f16_sdwa v82, v47, v57 dst_sel:DWORD dst_unused:UNUSED_PAD src0_sel:DWORD src1_sel:WORD_1
	s_waitcnt vmcnt(4)
	v_mul_f16_sdwa v83, v70, v58 dst_sel:DWORD dst_unused:UNUSED_PAD src0_sel:DWORD src1_sel:WORD_1
	v_mul_f16_sdwa v84, v48, v58 dst_sel:DWORD dst_unused:UNUSED_PAD src0_sel:DWORD src1_sel:WORD_1
	s_waitcnt vmcnt(3)
	v_mul_f16_sdwa v85, v71, v59 dst_sel:DWORD dst_unused:UNUSED_PAD src0_sel:DWORD src1_sel:WORD_1
	v_mul_f16_sdwa v86, v49, v59 dst_sel:DWORD dst_unused:UNUSED_PAD src0_sel:DWORD src1_sel:WORD_1
	s_waitcnt vmcnt(2)
	v_mul_f16_sdwa v87, v72, v60 dst_sel:DWORD dst_unused:UNUSED_PAD src0_sel:DWORD src1_sel:WORD_1
	v_mul_f16_sdwa v88, v50, v60 dst_sel:DWORD dst_unused:UNUSED_PAD src0_sel:DWORD src1_sel:WORD_1
	s_waitcnt vmcnt(1)
	v_mul_f16_sdwa v89, v73, v61 dst_sel:DWORD dst_unused:UNUSED_PAD src0_sel:DWORD src1_sel:WORD_1
	v_mul_f16_sdwa v90, v51, v61 dst_sel:DWORD dst_unused:UNUSED_PAD src0_sel:DWORD src1_sel:WORD_1
	v_fma_f16 v43, v43, v53, -v52
	v_fma_f16 v52, v65, v53, v64
	v_fma_f16 v44, v44, v54, -v75
	v_fma_f16 v53, v66, v54, v76
	v_fma_f16 v45, v45, v55, -v77
	v_fma_f16 v54, v67, v55, v78
	v_fma_f16 v46, v46, v56, -v79
	v_fma_f16 v55, v68, v56, v80
	v_fma_f16 v47, v47, v57, -v81
	v_fma_f16 v56, v69, v57, v82
	v_fma_f16 v48, v48, v58, -v83
	v_fma_f16 v57, v70, v58, v84
	v_fma_f16 v49, v49, v59, -v85
	v_fma_f16 v58, v71, v59, v86
	v_fma_f16 v50, v50, v60, -v87
	v_fma_f16 v59, v72, v60, v88
	v_fma_f16 v51, v51, v61, -v89
	v_fma_f16 v60, v73, v61, v90
	v_pack_b32_f16 v43, v43, v52
	s_waitcnt vmcnt(0)
	v_mul_f16_sdwa v91, v74, v62 dst_sel:DWORD dst_unused:UNUSED_PAD src0_sel:DWORD src1_sel:WORD_1
	v_pack_b32_f16 v44, v44, v53
	v_pack_b32_f16 v45, v45, v54
	;; [unrolled: 1-line block ×8, first 2 shown]
	ds_write2_b32 v25, v42, v43 offset1:49
	ds_write2_b32 v25, v44, v45 offset0:98 offset1:147
	ds_write2_b32 v25, v46, v47 offset0:196 offset1:245
	;; [unrolled: 1-line block ×4, first 2 shown]
	v_mul_f16_sdwa v42, v63, v62 dst_sel:DWORD dst_unused:UNUSED_PAD src0_sel:DWORD src1_sel:WORD_1
	v_fma_f16 v41, v63, v62, -v91
	v_fma_f16 v42, v74, v62, v42
	v_pack_b32_f16 v41, v41, v42
	ds_write_b32 v25, v41 offset:1960
.LBB0_9:
	s_or_b64 exec, exec, s[0:1]
	s_waitcnt lgkmcnt(0)
	s_barrier
	s_and_saveexec_b64 s[0:1], vcc
	s_cbranch_execz .LBB0_11
; %bb.10:
	v_add_u32_e32 v9, 0x400, v25
	ds_read2_b32 v[17:18], v25 offset1:49
	ds_read2_b32 v[19:20], v25 offset0:98 offset1:147
	ds_read2_b32 v[21:22], v25 offset0:196 offset1:245
	;; [unrolled: 1-line block ×4, first 2 shown]
	ds_read_b32 v28, v25 offset:1960
	s_waitcnt lgkmcnt(5)
	v_lshrrev_b32_e32 v35, 16, v18
	s_waitcnt lgkmcnt(4)
	v_lshrrev_b32_e32 v36, 16, v19
	v_lshrrev_b32_e32 v37, 16, v20
	s_waitcnt lgkmcnt(3)
	v_lshrrev_b32_e32 v38, 16, v21
	;; [unrolled: 3-line block ×5, first 2 shown]
.LBB0_11:
	s_or_b64 exec, exec, s[0:1]
	s_barrier
	s_and_saveexec_b64 s[0:1], vcc
	s_cbranch_execz .LBB0_13
; %bb.12:
	v_add_f16_e32 v41, v29, v35
	v_mul_f16_e32 v42, 0xbbad, v41
	v_sub_f16_e32 v43, v18, v28
	s_movk_i32 s16, 0x3482
	v_add_f16_e32 v45, v30, v36
	v_fma_f16 v44, v43, s16, v42
	v_mul_f16_e32 v46, 0x3abb, v45
	v_sub_f16_e32 v47, v19, v10
	s_mov_b32 s14, 0xb853
	v_add_f16_sdwa v44, v44, v17 dst_sel:DWORD dst_unused:UNUSED_PAD src0_sel:DWORD src1_sel:WORD_1
	v_fma_f16 v48, v47, s14, v46
	v_add_f16_e32 v44, v48, v44
	v_add_f16_e32 v48, v31, v37
	v_mul_f16_e32 v49, 0xb93d, v48
	v_sub_f16_e32 v50, v20, v9
	s_movk_i32 s23, 0x3a0c
	v_fma_f16 v51, v50, s23, v49
	v_add_f16_e32 v44, v51, v44
	v_add_f16_e32 v51, v32, v38
	v_mul_f16_e32 v52, 0x36a6, v51
	v_sub_f16_e32 v53, v21, v12
	s_mov_b32 s17, 0xbb47
	v_fma_f16 v54, v53, s17, v52
	v_add_f16_e32 v44, v54, v44
	v_add_f16_e32 v54, v40, v39
	v_mul_f16_e32 v55, 0xb08e, v54
	v_sub_f16_e32 v56, v22, v11
	s_movk_i32 s20, 0x3beb
	v_fma_f16 v57, v56, s20, v55
	v_sub_f16_e32 v58, v35, v29
	s_mov_b32 s2, 0xbbad
	v_add_f16_e32 v44, v57, v44
	v_add_f16_e32 v57, v28, v18
	v_mul_f16_e32 v59, 0xb482, v58
	v_sub_f16_e32 v62, v36, v30
	s_movk_i32 s3, 0x3abb
	v_fma_f16 v60, v57, s2, v59
	v_add_f16_e32 v61, v10, v19
	v_mul_f16_e32 v63, 0x3853, v62
	v_add_f16_e32 v60, v60, v17
	v_fma_f16 v64, v61, s3, v63
	v_sub_f16_e32 v65, v37, v31
	s_mov_b32 s4, 0xb93d
	v_add_f16_e32 v60, v64, v60
	v_add_f16_e32 v64, v9, v20
	v_mul_f16_e32 v66, 0xba0c, v65
	v_fma_f16 v67, v64, s4, v66
	v_sub_f16_e32 v68, v38, v32
	s_movk_i32 s5, 0x36a6
	v_add_f16_e32 v60, v67, v60
	v_add_f16_e32 v67, v12, v21
	v_mul_f16_e32 v69, 0x3b47, v68
	v_fma_f16 v70, v67, s5, v69
	v_sub_f16_e32 v71, v39, v40
	s_mov_b32 s15, 0xb08e
	v_add_f16_e32 v60, v70, v60
	v_add_f16_e32 v70, v11, v22
	v_mul_f16_e32 v72, 0xbbeb, v71
	v_fma_f16 v73, v70, s15, v72
	v_add_f16_e32 v60, v73, v60
	v_mul_f16_e32 v73, 0xb93d, v41
	s_mov_b32 s22, 0xbbeb
	v_fma_f16 v74, v43, s23, v73
	v_mul_f16_e32 v75, 0xb08e, v45
	v_add_f16_sdwa v74, v74, v17 dst_sel:DWORD dst_unused:UNUSED_PAD src0_sel:DWORD src1_sel:WORD_1
	v_fma_f16 v76, v47, s22, v75
	s_movk_i32 s21, 0x3853
	v_add_f16_e32 v74, v76, v74
	v_mul_f16_e32 v76, 0x3abb, v48
	v_fma_f16 v77, v50, s21, v76
	v_add_f16_e32 v74, v77, v74
	v_mul_f16_e32 v77, 0xbbad, v51
	v_fma_f16 v78, v53, s16, v77
	;; [unrolled: 3-line block ×4, first 2 shown]
	v_mul_f16_e32 v81, 0x3beb, v62
	v_add_f16_e32 v80, v80, v17
	v_fma_f16 v82, v61, s15, v81
	v_add_f16_e32 v80, v82, v80
	v_mul_f16_e32 v82, 0xb853, v65
	v_fma_f16 v83, v64, s3, v82
	v_add_f16_e32 v80, v83, v80
	v_mul_f16_e32 v83, 0xb482, v68
	;; [unrolled: 3-line block ×4, first 2 shown]
	s_mov_b32 s18, 0xb482
	v_fma_f16 v86, v43, s20, v85
	v_mul_f16_e32 v87, 0xbbad, v45
	v_add_f16_sdwa v86, v86, v17 dst_sel:DWORD dst_unused:UNUSED_PAD src0_sel:DWORD src1_sel:WORD_1
	v_fma_f16 v88, v47, s18, v87
	v_add_f16_e32 v86, v88, v86
	v_mul_f16_e32 v88, 0x36a6, v48
	v_fma_f16 v89, v50, s17, v88
	v_add_f16_e32 v86, v89, v86
	v_mul_f16_e32 v89, 0x3abb, v51
	v_fma_f16 v90, v53, s21, v89
	v_fma_f16 v42, v43, s18, v42
	s_mov_b32 s19, 0xba0c
	v_add_f16_e32 v86, v90, v86
	v_mul_f16_e32 v90, 0xb93d, v54
	v_add_f16_sdwa v42, v42, v17 dst_sel:DWORD dst_unused:UNUSED_PAD src0_sel:DWORD src1_sel:WORD_1
	v_fma_f16 v46, v47, s21, v46
	s_movk_i32 s24, 0x3b47
	v_fma_f16 v91, v56, s23, v90
	v_add_f16_e32 v42, v46, v42
	v_fma_f16 v46, v50, s19, v49
	v_add_f16_e32 v86, v91, v86
	v_mul_f16_e32 v91, 0xbbeb, v58
	v_add_f16_e32 v42, v46, v42
	v_fma_f16 v46, v53, s24, v52
	v_fma_f16 v92, v57, s15, v91
	v_mul_f16_e32 v93, 0x3482, v62
	v_add_f16_e32 v42, v46, v42
	v_fma_f16 v46, v56, s22, v55
	v_add_f16_e32 v92, v92, v17
	v_fma_f16 v94, v61, s2, v93
	v_add_f16_e32 v42, v46, v42
	v_fma_f16 v46, v57, s2, -v59
	v_add_f16_e32 v92, v94, v92
	v_mul_f16_e32 v94, 0x3b47, v65
	v_add_f16_e32 v46, v46, v17
	v_fma_f16 v49, v61, s3, -v63
	v_fma_f16 v95, v64, s5, v94
	v_add_f16_e32 v46, v49, v46
	v_fma_f16 v49, v64, s4, -v66
	v_add_f16_e32 v92, v95, v92
	v_mul_f16_e32 v95, 0xb853, v68
	v_add_f16_e32 v46, v49, v46
	v_fma_f16 v49, v67, s5, -v69
	v_fma_f16 v96, v67, s3, v95
	v_add_f16_e32 v46, v49, v46
	v_fma_f16 v49, v70, s15, -v72
	v_add_f16_e32 v92, v96, v92
	v_mul_f16_e32 v96, 0xba0c, v71
	v_add_f16_e32 v46, v49, v46
	v_fma_f16 v49, v43, s19, v73
	v_fma_f16 v97, v70, s4, v96
	v_add_f16_sdwa v49, v49, v17 dst_sel:DWORD dst_unused:UNUSED_PAD src0_sel:DWORD src1_sel:WORD_1
	v_fma_f16 v52, v47, s20, v75
	v_add_f16_e32 v92, v97, v92
	v_mul_f16_e32 v97, 0x36a6, v41
	v_add_f16_e32 v49, v52, v49
	v_fma_f16 v52, v50, s14, v76
	v_fma_f16 v98, v43, s24, v97
	v_mul_f16_e32 v99, 0xb93d, v45
	v_add_f16_e32 v49, v52, v49
	v_fma_f16 v52, v53, s18, v77
	v_add_f16_sdwa v98, v98, v17 dst_sel:DWORD dst_unused:UNUSED_PAD src0_sel:DWORD src1_sel:WORD_1
	v_fma_f16 v100, v47, s23, v99
	v_add_f16_e32 v49, v52, v49
	v_fma_f16 v52, v56, s24, v78
	v_add_f16_e32 v98, v100, v98
	v_mul_f16_e32 v100, 0xbbad, v48
	v_add_f16_e32 v49, v52, v49
	v_fma_f16 v52, v57, s4, -v79
	v_fma_f16 v101, v50, s18, v100
	v_add_f16_e32 v52, v52, v17
	v_fma_f16 v55, v61, s15, -v81
	v_add_f16_e32 v98, v101, v98
	v_mul_f16_e32 v101, 0xb08e, v51
	v_add_f16_e32 v52, v55, v52
	v_fma_f16 v55, v64, s3, -v82
	v_fma_f16 v102, v53, s22, v101
	v_add_f16_e32 v52, v55, v52
	v_fma_f16 v55, v67, s2, -v83
	v_add_f16_e32 v98, v102, v98
	v_mul_f16_e32 v102, 0x3abb, v54
	v_add_f16_e32 v52, v55, v52
	v_fma_f16 v55, v70, s5, -v84
	v_fma_f16 v103, v56, s14, v102
	v_add_f16_e32 v52, v55, v52
	v_fma_f16 v55, v43, s22, v85
	v_add_f16_e32 v98, v103, v98
	v_mul_f16_e32 v103, 0xbb47, v58
	v_add_f16_sdwa v55, v55, v17 dst_sel:DWORD dst_unused:UNUSED_PAD src0_sel:DWORD src1_sel:WORD_1
	v_fma_f16 v59, v47, s16, v87
	v_fma_f16 v104, v57, s5, v103
	v_mul_f16_e32 v105, 0xba0c, v62
	v_add_f16_e32 v55, v59, v55
	v_fma_f16 v59, v50, s24, v88
	v_add_f16_e32 v104, v104, v17
	v_fma_f16 v106, v61, s4, v105
	;; [unrolled: 2-line block ×3, first 2 shown]
	v_add_f16_e32 v104, v106, v104
	v_mul_f16_e32 v106, 0x3482, v65
	v_add_f16_e32 v55, v59, v55
	v_fma_f16 v59, v56, s19, v90
	v_fma_f16 v107, v64, s2, v106
	v_add_f16_e32 v55, v59, v55
	v_fma_f16 v59, v57, s15, -v91
	v_add_f16_e32 v104, v107, v104
	v_mul_f16_e32 v107, 0x3beb, v68
	v_add_f16_e32 v59, v59, v17
	v_fma_f16 v63, v61, s2, -v93
	v_fma_f16 v108, v67, s15, v107
	v_add_f16_e32 v59, v63, v59
	v_fma_f16 v63, v64, s5, -v94
	v_add_f16_e32 v104, v108, v104
	v_mul_f16_e32 v108, 0x3853, v71
	v_add_f16_e32 v59, v63, v59
	v_fma_f16 v63, v67, s3, -v95
	v_fma_f16 v109, v70, s3, v108
	v_mul_f16_e32 v41, 0x3abb, v41
	v_add_f16_e32 v59, v63, v59
	v_fma_f16 v63, v70, s4, -v96
	v_add_f16_e32 v104, v109, v104
	v_fma_f16 v109, v43, s21, v41
	v_mul_f16_e32 v45, 0x36a6, v45
	v_add_f16_e32 v59, v63, v59
	v_fma_f16 v63, v43, s17, v97
	v_fma_f16 v41, v43, s14, v41
	v_add_f16_sdwa v109, v109, v17 dst_sel:DWORD dst_unused:UNUSED_PAD src0_sel:DWORD src1_sel:WORD_1
	v_fma_f16 v110, v47, s24, v45
	v_mul_f16_e32 v48, 0xb08e, v48
	v_add_f16_sdwa v63, v63, v17 dst_sel:DWORD dst_unused:UNUSED_PAD src0_sel:DWORD src1_sel:WORD_1
	v_fma_f16 v66, v47, s19, v99
	v_add_f16_sdwa v41, v41, v17 dst_sel:DWORD dst_unused:UNUSED_PAD src0_sel:DWORD src1_sel:WORD_1
	v_fma_f16 v43, v47, s17, v45
	v_add_f16_e32 v109, v110, v109
	v_fma_f16 v110, v50, s20, v48
	v_mul_f16_e32 v51, 0xb93d, v51
	v_add_f16_e32 v63, v66, v63
	v_fma_f16 v66, v50, s16, v100
	v_add_f16_e32 v41, v43, v41
	v_fma_f16 v43, v50, s22, v48
	v_add_f16_e32 v109, v110, v109
	v_fma_f16 v110, v53, s23, v51
	v_mul_f16_e32 v54, 0xbbad, v54
	v_add_f16_e32 v63, v66, v63
	v_fma_f16 v66, v53, s20, v101
	v_add_f16_e32 v41, v43, v41
	;; [unrolled: 7-line block ×3, first 2 shown]
	v_fma_f16 v43, v56, s18, v54
	v_add_f16_e32 v109, v110, v109
	v_fma_f16 v110, v57, s3, v58
	v_add_f16_e32 v63, v66, v63
	v_fma_f16 v66, v57, s5, -v103
	v_add_f16_e32 v41, v43, v41
	v_fma_f16 v43, v57, s3, -v58
	v_add_f16_e32 v110, v110, v17
	v_add_f16_e32 v66, v66, v17
	;; [unrolled: 1-line block ×3, first 2 shown]
	v_add_f16_sdwa v35, v35, v17 dst_sel:DWORD dst_unused:UNUSED_PAD src0_sel:DWORD src1_sel:WORD_1
	v_add_f16_e32 v17, v18, v17
	v_add_f16_e32 v35, v36, v35
	v_add_f16_e32 v17, v19, v17
	v_add_f16_e32 v35, v37, v35
	v_add_f16_e32 v17, v20, v17
	v_add_f16_e32 v35, v38, v35
	v_add_f16_e32 v17, v21, v17
	v_add_f16_e32 v35, v39, v35
	v_add_f16_e32 v17, v22, v17
	v_mul_f16_e32 v62, 0xbb47, v62
	v_add_f16_e32 v35, v40, v35
	v_add_f16_e32 v11, v11, v17
	v_fma_f16 v111, v61, s5, v62
	v_mul_f16_e32 v65, 0xbbeb, v65
	v_add_f16_e32 v32, v32, v35
	v_add_f16_e32 v11, v12, v11
	v_add_f16_e32 v110, v111, v110
	v_fma_f16 v111, v64, s15, v65
	v_mul_f16_e32 v68, 0xba0c, v68
	v_add_f16_e32 v31, v31, v32
	;; [unrolled: 5-line block ×3, first 2 shown]
	v_add_f16_e32 v9, v10, v9
	v_add_f16_e32 v110, v111, v110
	v_fma_f16 v111, v70, s2, v71
	v_add_f16_sdwa v29, v29, v30 dst_sel:WORD_1 dst_unused:UNUSED_PAD src0_sel:DWORD src1_sel:DWORD
	v_add_f16_e32 v9, v28, v9
	v_add_f16_e32 v110, v111, v110
	v_fma_f16 v69, v61, s4, -v105
	v_fma_f16 v45, v61, s5, -v62
	v_or_b32_e32 v9, v29, v9
	v_lshl_add_u32 v10, v27, 2, v26
	v_add_f16_e32 v66, v69, v66
	v_fma_f16 v69, v64, s2, -v106
	v_add_f16_e32 v43, v45, v43
	v_fma_f16 v45, v64, s15, -v65
	ds_write_b32 v10, v9
	v_pack_b32_f16 v9, v104, v98
	v_pack_b32_f16 v11, v110, v109
	v_add_f16_e32 v66, v69, v66
	v_fma_f16 v69, v67, s15, -v107
	v_add_f16_e32 v43, v45, v43
	v_fma_f16 v45, v67, s4, -v68
	ds_write2_b32 v10, v11, v9 offset0:1 offset1:2
	v_pack_b32_f16 v9, v80, v74
	v_pack_b32_f16 v11, v92, v86
	v_add_f16_e32 v66, v69, v66
	v_fma_f16 v69, v70, s3, -v108
	v_add_f16_e32 v43, v45, v43
	v_fma_f16 v45, v70, s2, -v71
	ds_write2_b32 v10, v11, v9 offset0:3 offset1:4
	v_pack_b32_f16 v9, v46, v42
	v_pack_b32_f16 v11, v60, v44
	v_add_f16_e32 v66, v69, v66
	v_add_f16_e32 v43, v45, v43
	ds_write2_b32 v10, v11, v9 offset0:5 offset1:6
	v_pack_b32_f16 v9, v59, v55
	v_pack_b32_f16 v11, v52, v49
	ds_write2_b32 v10, v11, v9 offset0:7 offset1:8
	v_pack_b32_f16 v9, v43, v41
	v_pack_b32_f16 v11, v66, v63
	ds_write2_b32 v10, v11, v9 offset0:9 offset1:10
.LBB0_13:
	s_or_b64 exec, exec, s[0:1]
	s_waitcnt lgkmcnt(0)
	s_barrier
	ds_read2_b32 v[9:10], v33 offset1:77
	ds_read2_b32 v[11:12], v33 offset0:154 offset1:231
	v_add_u32_e32 v19, 0x400, v33
	ds_read2_b32 v[17:18], v19 offset0:52 offset1:129
	ds_read_b32 v21, v33 offset:1848
	s_waitcnt lgkmcnt(3)
	v_lshrrev_b32_e32 v20, 16, v10
	v_mul_f16_sdwa v30, v0, v20 dst_sel:DWORD dst_unused:UNUSED_PAD src0_sel:WORD_1 src1_sel:DWORD
	s_waitcnt lgkmcnt(2)
	v_lshrrev_b32_e32 v22, 16, v11
	v_fma_f16 v30, v0, v10, v30
	v_mul_f16_sdwa v10, v0, v10 dst_sel:DWORD dst_unused:UNUSED_PAD src0_sel:WORD_1 src1_sel:DWORD
	v_fma_f16 v0, v0, v20, -v10
	v_mul_f16_sdwa v10, v1, v22 dst_sel:DWORD dst_unused:UNUSED_PAD src0_sel:WORD_1 src1_sel:DWORD
	v_lshrrev_b32_e32 v26, 16, v12
	v_fma_f16 v10, v1, v11, v10
	v_mul_f16_sdwa v11, v1, v11 dst_sel:DWORD dst_unused:UNUSED_PAD src0_sel:WORD_1 src1_sel:DWORD
	v_fma_f16 v1, v1, v22, -v11
	v_mul_f16_sdwa v11, v2, v26 dst_sel:DWORD dst_unused:UNUSED_PAD src0_sel:WORD_1 src1_sel:DWORD
	s_waitcnt lgkmcnt(1)
	v_lshrrev_b32_e32 v27, 16, v17
	v_fma_f16 v11, v2, v12, v11
	v_mul_f16_sdwa v12, v2, v12 dst_sel:DWORD dst_unused:UNUSED_PAD src0_sel:WORD_1 src1_sel:DWORD
	v_fma_f16 v2, v2, v26, -v12
	v_mul_f16_sdwa v12, v3, v27 dst_sel:DWORD dst_unused:UNUSED_PAD src0_sel:WORD_1 src1_sel:DWORD
	v_lshrrev_b32_e32 v28, 16, v18
	v_fma_f16 v12, v3, v17, v12
	v_mul_f16_sdwa v17, v3, v17 dst_sel:DWORD dst_unused:UNUSED_PAD src0_sel:WORD_1 src1_sel:DWORD
	v_fma_f16 v3, v3, v27, -v17
	v_mul_f16_sdwa v17, v13, v28 dst_sel:DWORD dst_unused:UNUSED_PAD src0_sel:WORD_1 src1_sel:DWORD
	s_waitcnt lgkmcnt(0)
	v_lshrrev_b32_e32 v29, 16, v21
	v_fma_f16 v17, v13, v18, v17
	v_mul_f16_sdwa v18, v13, v18 dst_sel:DWORD dst_unused:UNUSED_PAD src0_sel:WORD_1 src1_sel:DWORD
	v_fma_f16 v13, v13, v28, -v18
	v_mul_f16_sdwa v18, v14, v29 dst_sel:DWORD dst_unused:UNUSED_PAD src0_sel:WORD_1 src1_sel:DWORD
	v_mul_f16_sdwa v20, v14, v21 dst_sel:DWORD dst_unused:UNUSED_PAD src0_sel:WORD_1 src1_sel:DWORD
	v_fma_f16 v18, v14, v21, v18
	v_fma_f16 v14, v14, v29, -v20
	v_add_f16_e32 v20, v30, v18
	v_add_f16_e32 v21, v0, v14
	v_sub_f16_e32 v0, v0, v14
	v_add_f16_e32 v14, v10, v17
	v_add_f16_e32 v22, v1, v13
	v_sub_f16_e32 v10, v10, v17
	v_sub_f16_e32 v1, v1, v13
	v_add_f16_e32 v13, v11, v12
	v_add_f16_e32 v17, v2, v3
	v_sub_f16_e32 v11, v12, v11
	;; [unrolled: 4-line block ×3, first 2 shown]
	v_add_f16_e32 v3, v13, v3
	v_add_f16_e32 v12, v17, v12
	v_sub_f16_e32 v26, v14, v20
	v_sub_f16_e32 v27, v22, v21
	;; [unrolled: 1-line block ×6, first 2 shown]
	v_add_f16_e32 v28, v11, v10
	v_add_f16_e32 v29, v2, v1
	v_sub_f16_e32 v30, v11, v10
	v_sub_f16_e32 v31, v2, v1
	;; [unrolled: 1-line block ×4, first 2 shown]
	v_add_f16_e32 v17, v3, v9
	v_add_f16_sdwa v9, v12, v9 dst_sel:DWORD dst_unused:UNUSED_PAD src0_sel:DWORD src1_sel:WORD_1
	v_sub_f16_e32 v11, v18, v11
	v_sub_f16_e32 v2, v0, v2
	v_add_f16_e32 v13, v28, v18
	v_add_f16_e32 v0, v29, v0
	v_lshlrev_b32_e32 v18, 16, v9
	v_mul_f16_e32 v20, 0x3a52, v20
	v_mul_f16_e32 v21, 0x3a52, v21
	s_movk_i32 s0, 0x2b26
	v_mul_f16_e32 v28, 0x2b26, v14
	v_mul_f16_e32 v29, 0x2b26, v22
	;; [unrolled: 1-line block ×4, first 2 shown]
	s_mov_b32 s1, 0xbb00
	v_mul_f16_e32 v32, 0xbb00, v10
	v_mul_f16_e32 v35, 0xbb00, v1
	s_mov_b32 s2, 0xbcab
	s_movk_i32 s3, 0x39e0
	s_mov_b32 s4, 0xb9e0
	s_mov_b32 s5, 0xb574
	s_movk_i32 s14, 0x3574
	v_or_b32_e32 v18, v18, v17
	v_fma_f16 v3, v3, s2, v17
	v_fma_f16 v9, v12, s2, v9
	;; [unrolled: 1-line block ×4, first 2 shown]
	v_fma_f16 v17, v26, s3, -v28
	v_fma_f16 v22, v27, s3, -v29
	;; [unrolled: 1-line block ×4, first 2 shown]
	v_fma_f16 v26, v11, s5, v30
	v_fma_f16 v27, v2, s5, v31
	v_fma_f16 v10, v10, s1, -v30
	v_fma_f16 v1, v1, s1, -v31
	;; [unrolled: 1-line block ×4, first 2 shown]
	s_mov_b32 s15, 0xb70e
	v_add_f16_e32 v12, v12, v3
	v_add_f16_e32 v14, v14, v9
	;; [unrolled: 1-line block ×6, first 2 shown]
	v_fma_f16 v20, v13, s15, v26
	v_fma_f16 v21, v0, s15, v27
	;; [unrolled: 1-line block ×6, first 2 shown]
	v_add_f16_e32 v2, v21, v12
	v_sub_f16_e32 v13, v14, v20
	v_add_f16_e32 v26, v0, v3
	v_sub_f16_e32 v28, v17, v1
	v_add_f16_e32 v29, v10, v22
	v_add_f16_e32 v1, v1, v17
	v_sub_f16_e32 v10, v22, v10
	v_sub_f16_e32 v0, v3, v0
	v_add_f16_e32 v3, v11, v9
	v_sub_f16_e32 v27, v9, v11
	v_sub_f16_e32 v9, v12, v21
	v_add_f16_e32 v11, v20, v14
	v_pack_b32_f16 v2, v2, v13
	v_pack_b32_f16 v1, v1, v10
	;; [unrolled: 1-line block ×3, first 2 shown]
	s_barrier
	ds_write2_b32 v34, v18, v2 offset1:11
	v_pack_b32_f16 v2, v26, v27
	v_pack_b32_f16 v12, v28, v29
	ds_write2_b32 v34, v1, v0 offset0:44 offset1:55
	v_pack_b32_f16 v0, v9, v11
	ds_write2_b32 v34, v2, v12 offset0:22 offset1:33
	ds_write_b32 v34, v0 offset:264
	s_waitcnt lgkmcnt(0)
	s_barrier
	ds_read2_b32 v[0:1], v33 offset1:77
	ds_read2_b32 v[2:3], v33 offset0:154 offset1:231
	ds_read2_b32 v[9:10], v19 offset0:52 offset1:129
	ds_read_b32 v12, v33 offset:1848
	s_waitcnt lgkmcnt(3)
	v_lshrrev_b32_e32 v11, 16, v1
	v_mul_f16_sdwa v20, v4, v11 dst_sel:DWORD dst_unused:UNUSED_PAD src0_sel:WORD_1 src1_sel:DWORD
	s_waitcnt lgkmcnt(2)
	v_lshrrev_b32_e32 v13, 16, v2
	v_fma_f16 v20, v4, v1, v20
	v_mul_f16_sdwa v1, v4, v1 dst_sel:DWORD dst_unused:UNUSED_PAD src0_sel:WORD_1 src1_sel:DWORD
	v_fma_f16 v1, v4, v11, -v1
	v_mul_f16_sdwa v4, v5, v13 dst_sel:DWORD dst_unused:UNUSED_PAD src0_sel:WORD_1 src1_sel:DWORD
	v_lshrrev_b32_e32 v14, 16, v3
	v_fma_f16 v4, v5, v2, v4
	v_mul_f16_sdwa v2, v5, v2 dst_sel:DWORD dst_unused:UNUSED_PAD src0_sel:WORD_1 src1_sel:DWORD
	v_fma_f16 v2, v5, v13, -v2
	v_mul_f16_sdwa v5, v6, v14 dst_sel:DWORD dst_unused:UNUSED_PAD src0_sel:WORD_1 src1_sel:DWORD
	s_waitcnt lgkmcnt(1)
	v_lshrrev_b32_e32 v17, 16, v9
	v_fma_f16 v5, v6, v3, v5
	v_mul_f16_sdwa v3, v6, v3 dst_sel:DWORD dst_unused:UNUSED_PAD src0_sel:WORD_1 src1_sel:DWORD
	v_fma_f16 v3, v6, v14, -v3
	v_mul_f16_sdwa v6, v7, v17 dst_sel:DWORD dst_unused:UNUSED_PAD src0_sel:WORD_1 src1_sel:DWORD
	v_lshrrev_b32_e32 v18, 16, v10
	s_waitcnt lgkmcnt(0)
	v_lshrrev_b32_e32 v19, 16, v12
	v_fma_f16 v6, v7, v9, v6
	v_mul_f16_sdwa v9, v7, v9 dst_sel:DWORD dst_unused:UNUSED_PAD src0_sel:WORD_1 src1_sel:DWORD
	v_fma_f16 v7, v7, v17, -v9
	v_mul_f16_sdwa v9, v15, v18 dst_sel:DWORD dst_unused:UNUSED_PAD src0_sel:WORD_1 src1_sel:DWORD
	v_mul_f16_sdwa v11, v16, v19 dst_sel:DWORD dst_unused:UNUSED_PAD src0_sel:WORD_1 src1_sel:DWORD
	v_fma_f16 v9, v15, v10, v9
	v_mul_f16_sdwa v10, v15, v10 dst_sel:DWORD dst_unused:UNUSED_PAD src0_sel:WORD_1 src1_sel:DWORD
	v_fma_f16 v11, v16, v12, v11
	v_mul_f16_sdwa v12, v16, v12 dst_sel:DWORD dst_unused:UNUSED_PAD src0_sel:WORD_1 src1_sel:DWORD
	v_fma_f16 v10, v15, v18, -v10
	v_fma_f16 v12, v16, v19, -v12
	v_add_f16_e32 v13, v20, v11
	v_add_f16_e32 v14, v1, v12
	v_sub_f16_e32 v1, v1, v12
	v_add_f16_e32 v12, v4, v9
	v_add_f16_e32 v15, v2, v10
	v_sub_f16_e32 v4, v4, v9
	v_sub_f16_e32 v2, v2, v10
	v_add_f16_e32 v9, v5, v6
	v_add_f16_e32 v10, v3, v7
	v_sub_f16_e32 v5, v6, v5
	v_sub_f16_e32 v3, v7, v3
	v_add_f16_e32 v6, v12, v13
	v_add_f16_e32 v7, v15, v14
	;; [unrolled: 1-line block ×4, first 2 shown]
	v_sub_f16_e32 v11, v20, v11
	v_sub_f16_e32 v16, v12, v13
	;; [unrolled: 1-line block ×7, first 2 shown]
	v_add_f16_e32 v18, v5, v4
	v_add_f16_e32 v19, v3, v2
	v_sub_f16_e32 v20, v5, v4
	v_sub_f16_e32 v21, v3, v2
	v_add_f16_e32 v10, v6, v0
	v_add_f16_sdwa v0, v7, v0 dst_sel:DWORD dst_unused:UNUSED_PAD src0_sel:DWORD src1_sel:WORD_1
	v_sub_f16_e32 v5, v11, v5
	v_sub_f16_e32 v3, v1, v3
	;; [unrolled: 1-line block ×4, first 2 shown]
	v_add_f16_e32 v9, v18, v11
	v_add_f16_e32 v1, v19, v1
	v_lshlrev_b32_e32 v11, 16, v0
	v_mul_f16_e32 v13, 0x3a52, v13
	v_mul_f16_e32 v14, 0x3a52, v14
	;; [unrolled: 1-line block ×6, first 2 shown]
	v_or_b32_e32 v11, v11, v10
	v_mul_f16_e32 v22, 0xbb00, v4
	v_mul_f16_e32 v26, 0xbb00, v2
	v_fma_f16 v6, v6, s2, v10
	v_fma_f16 v0, v7, s2, v0
	;; [unrolled: 1-line block ×4, first 2 shown]
	v_fma_f16 v12, v16, s3, -v18
	v_fma_f16 v15, v17, s3, -v19
	;; [unrolled: 1-line block ×4, first 2 shown]
	v_fma_f16 v16, v5, s5, v20
	v_fma_f16 v17, v3, s5, v21
	v_fma_f16 v4, v4, s1, -v20
	v_fma_f16 v2, v2, s1, -v21
	v_fma_f16 v5, v5, s14, -v22
	v_fma_f16 v3, v3, s14, -v26
	v_add_f16_e32 v7, v7, v6
	v_add_f16_e32 v10, v10, v0
	;; [unrolled: 1-line block ×6, first 2 shown]
	v_fma_f16 v13, v9, s15, v16
	v_fma_f16 v14, v1, s15, v17
	v_fma_f16 v4, v9, s15, v4
	v_fma_f16 v2, v1, s15, v2
	v_fma_f16 v5, v9, s15, v5
	v_fma_f16 v1, v1, s15, v3
	v_add_f16_e32 v3, v14, v7
	v_sub_f16_e32 v9, v10, v13
	v_add_f16_e32 v16, v1, v6
	v_sub_f16_e32 v17, v0, v5
	v_sub_f16_e32 v18, v12, v2
	v_add_f16_e32 v19, v4, v15
	v_pack_b32_f16 v3, v3, v9
	v_add_f16_e32 v2, v2, v12
	v_sub_f16_e32 v4, v15, v4
	v_sub_f16_e32 v1, v6, v1
	v_add_f16_e32 v0, v5, v0
	v_sub_f16_e32 v5, v7, v14
	ds_write2_b32 v25, v11, v3 offset1:77
	v_pack_b32_f16 v3, v16, v17
	v_pack_b32_f16 v7, v18, v19
	v_add_f16_e32 v6, v13, v10
	ds_write2_b32 v25, v3, v7 offset0:154 offset1:231
	v_pack_b32_f16 v2, v2, v4
	v_pack_b32_f16 v0, v1, v0
	v_add_u32_e32 v7, 0x400, v25
	ds_write2_b32 v7, v2, v0 offset0:52 offset1:129
	v_pack_b32_f16 v0, v5, v6
	ds_write_b32 v25, v0 offset:1848
	s_waitcnt lgkmcnt(0)
	s_barrier
	s_and_b64 exec, exec, vcc
	s_cbranch_execz .LBB0_15
; %bb.14:
	global_load_dword v11, v23, s[6:7]
	global_load_dword v10, v23, s[6:7] offset:196
	ds_read_b32 v17, v25
	v_mad_u64_u32 v[2:3], s[0:1], s10, v8, 0
	v_mad_u64_u32 v[4:5], s[0:1], s8, v24, 0
	ds_read2_b32 v[0:1], v25 offset0:49 offset1:98
	s_mov_b32 s14, 0xdbe74d6b
	v_mad_u64_u32 v[18:19], s[0:1], s11, v8, v[3:4]
	s_waitcnt lgkmcnt(1)
	v_lshrrev_b32_e32 v3, 16, v17
	s_mov_b32 s15, 0x3f5e65a3
	v_mov_b32_e32 v6, 0x7c00
	global_load_dword v12, v23, s[6:7] offset:392
	global_load_dword v13, v23, s[6:7] offset:588
	;; [unrolled: 1-line block ×6, first 2 shown]
	v_mad_u64_u32 v[21:22], s[0:1], s9, v24, v[5:6]
	s_movk_i32 s18, 0x1ff
	s_movk_i32 s17, 0xffe
	v_mov_b32_e32 v5, v21
	s_movk_i32 s16, 0x40f
	s_mov_b32 s10, 0x8000
	s_waitcnt vmcnt(7)
	v_mul_f16_sdwa v8, v3, v11 dst_sel:DWORD dst_unused:UNUSED_PAD src0_sel:DWORD src1_sel:WORD_1
	v_fma_f16 v8, v17, v11, v8
	v_mul_f16_sdwa v17, v17, v11 dst_sel:DWORD dst_unused:UNUSED_PAD src0_sel:DWORD src1_sel:WORD_1
	v_cvt_f32_f16_e32 v8, v8
	v_fma_f16 v3, v11, v3, -v17
	v_cvt_f32_f16_e32 v3, v3
	v_cvt_f64_f32_e32 v[19:20], v8
	s_waitcnt lgkmcnt(0)
	v_lshrrev_b32_e32 v8, 16, v0
	v_cvt_f64_f32_e32 v[26:27], v3
	s_waitcnt vmcnt(6)
	v_mul_f16_sdwa v3, v8, v10 dst_sel:DWORD dst_unused:UNUSED_PAD src0_sel:DWORD src1_sel:WORD_1
	v_mul_f64 v[19:20], v[19:20], s[14:15]
	v_fma_f16 v3, v0, v10, v3
	v_mul_f64 v[26:27], v[26:27], s[14:15]
	v_cvt_f32_f16_e32 v11, v3
	v_mov_b32_e32 v3, v18
	v_lshlrev_b64 v[2:3], 2, v[2:3]
	v_mul_f16_sdwa v0, v0, v10 dst_sel:DWORD dst_unused:UNUSED_PAD src0_sel:DWORD src1_sel:WORD_1
	v_cvt_f64_f32_e32 v[17:18], v11
	v_and_or_b32 v11, v20, s18, v19
	v_cmp_ne_u32_e32 vcc, 0, v11
	v_and_or_b32 v22, v27, s18, v26
	v_lshrrev_b32_e32 v19, 8, v20
	v_bfe_u32 v21, v20, 20, 11
	v_cndmask_b32_e64 v11, 0, 1, vcc
	v_cmp_ne_u32_e32 vcc, 0, v22
	v_lshrrev_b32_e32 v24, 8, v27
	v_bfe_u32 v26, v27, 20, 11
	v_sub_u32_e32 v28, 0x3f1, v21
	v_cndmask_b32_e64 v22, 0, 1, vcc
	v_and_or_b32 v11, v19, s17, v11
	v_sub_u32_e32 v29, 0x3f1, v26
	v_med3_i32 v19, v28, 0, 13
	v_and_or_b32 v22, v24, s17, v22
	v_or_b32_e32 v28, 0x1000, v11
	v_add_u32_e32 v21, 0xfffffc10, v21
	v_med3_i32 v24, v29, 0, 13
	v_cmp_ne_u32_e32 vcc, 0, v11
	v_or_b32_e32 v30, 0x1000, v22
	v_lshrrev_b32_e32 v32, v19, v28
	v_add_u32_e32 v26, 0xfffffc10, v26
	v_lshl_or_b32 v29, v21, 12, v11
	v_cndmask_b32_e64 v11, 0, 1, vcc
	v_cmp_ne_u32_e32 vcc, 0, v22
	v_lshrrev_b32_e32 v33, v24, v30
	v_lshlrev_b32_e32 v19, v19, v32
	v_lshl_or_b32 v31, v26, 12, v22
	v_cndmask_b32_e64 v22, 0, 1, vcc
	v_lshlrev_b32_e32 v24, v24, v33
	v_cmp_ne_u32_e32 vcc, v19, v28
	v_cndmask_b32_e64 v19, 0, 1, vcc
	v_cmp_ne_u32_e32 vcc, v24, v30
	v_cndmask_b32_e64 v24, 0, 1, vcc
	v_or_b32_e32 v19, v32, v19
	v_cmp_gt_i32_e32 vcc, 1, v21
	v_cndmask_b32_e32 v19, v29, v19, vcc
	v_or_b32_e32 v24, v33, v24
	v_cmp_gt_i32_e32 vcc, 1, v26
	v_and_b32_e32 v28, 7, v19
	v_cndmask_b32_e32 v24, v31, v24, vcc
	v_cmp_lt_i32_e32 vcc, 5, v28
	v_cmp_eq_u32_e64 s[0:1], 3, v28
	v_lshrrev_b32_e32 v19, 2, v19
	v_and_b32_e32 v29, 7, v24
	s_or_b64 vcc, s[0:1], vcc
	v_cmp_lt_i32_e64 s[2:3], 5, v29
	v_cmp_eq_u32_e64 s[4:5], 3, v29
	v_addc_co_u32_e32 v19, vcc, 0, v19, vcc
	v_lshrrev_b32_e32 v24, 2, v24
	s_or_b64 vcc, s[4:5], s[2:3]
	v_addc_co_u32_e32 v24, vcc, 0, v24, vcc
	v_cmp_gt_i32_e32 vcc, 31, v21
	v_cndmask_b32_e32 v19, v6, v19, vcc
	v_cmp_gt_i32_e32 vcc, 31, v26
	v_lshl_or_b32 v11, v11, 9, v6
	v_cndmask_b32_e32 v24, v6, v24, vcc
	v_cmp_eq_u32_e32 vcc, s16, v21
	v_mul_f64 v[17:18], v[17:18], s[14:15]
	v_lshrrev_b32_e32 v20, 16, v20
	v_lshl_or_b32 v22, v22, 9, v6
	v_cndmask_b32_e32 v11, v19, v11, vcc
	v_cmp_eq_u32_e32 vcc, s16, v26
	v_lshrrev_b32_e32 v27, 16, v27
	v_cndmask_b32_e32 v19, v24, v22, vcc
	v_and_or_b32 v11, v20, s10, v11
	v_and_or_b32 v19, v27, s10, v19
	v_and_b32_e32 v11, 0xffff, v11
	v_lshl_or_b32 v11, v19, 16, v11
	v_mov_b32_e32 v19, s13
	v_add_co_u32_e32 v20, vcc, s12, v2
	v_addc_co_u32_e32 v19, vcc, v19, v3, vcc
	v_lshlrev_b64 v[2:3], 2, v[4:5]
	v_and_or_b32 v4, v18, s18, v17
	v_add_co_u32_e32 v2, vcc, v20, v2
	v_addc_co_u32_e32 v3, vcc, v19, v3, vcc
	v_cmp_ne_u32_e32 vcc, 0, v4
	v_cndmask_b32_e64 v4, 0, 1, vcc
	v_lshrrev_b32_e32 v5, 8, v18
	global_store_dword v[2:3], v11, off
	v_and_or_b32 v11, v5, s17, v4
	v_bfe_u32 v5, v18, 20, 11
	v_sub_u32_e32 v17, 0x3f1, v5
	v_or_b32_e32 v4, 0x1000, v11
	v_med3_i32 v17, v17, 0, 13
	v_lshrrev_b32_e32 v19, v17, v4
	v_lshlrev_b32_e32 v17, v17, v19
	v_cmp_ne_u32_e32 vcc, v17, v4
	v_fma_f16 v0, v10, v8, -v0
	v_cndmask_b32_e64 v4, 0, 1, vcc
	v_add_u32_e32 v17, 0xfffffc10, v5
	v_cvt_f32_f16_e32 v0, v0
	v_or_b32_e32 v4, v19, v4
	v_lshl_or_b32 v5, v17, 12, v11
	v_cmp_gt_i32_e32 vcc, 1, v17
	v_cndmask_b32_e32 v4, v5, v4, vcc
	v_and_b32_e32 v5, 7, v4
	v_cmp_lt_i32_e32 vcc, 5, v5
	v_cmp_eq_u32_e64 s[0:1], 3, v5
	v_lshrrev_b32_e32 v8, 2, v4
	v_cvt_f64_f32_e32 v[4:5], v0
	s_or_b64 vcc, s[0:1], vcc
	v_addc_co_u32_e32 v0, vcc, 0, v8, vcc
	v_mul_f64 v[4:5], v[4:5], s[14:15]
	v_cmp_gt_i32_e32 vcc, 31, v17
	v_cndmask_b32_e32 v0, v6, v0, vcc
	v_cmp_ne_u32_e32 vcc, 0, v11
	v_cndmask_b32_e64 v8, 0, 1, vcc
	v_lshl_or_b32 v8, v8, 9, v6
	v_cmp_eq_u32_e32 vcc, s16, v17
	v_cndmask_b32_e32 v0, v0, v8, vcc
	v_and_or_b32 v4, v5, s18, v4
	v_lshrrev_b32_e32 v8, 16, v18
	v_cmp_ne_u32_e32 vcc, 0, v4
	v_and_or_b32 v0, v8, s10, v0
	v_cndmask_b32_e64 v4, 0, 1, vcc
	v_lshrrev_b32_e32 v8, 8, v5
	v_bfe_u32 v10, v5, 20, 11
	v_and_or_b32 v4, v8, s17, v4
	v_sub_u32_e32 v11, 0x3f1, v10
	v_or_b32_e32 v8, 0x1000, v4
	v_med3_i32 v11, v11, 0, 13
	v_lshrrev_b32_e32 v17, v11, v8
	v_lshlrev_b32_e32 v11, v11, v17
	v_cmp_ne_u32_e32 vcc, v11, v8
	v_cndmask_b32_e64 v8, 0, 1, vcc
	v_add_u32_e32 v10, 0xfffffc10, v10
	v_or_b32_e32 v8, v17, v8
	v_lshl_or_b32 v11, v10, 12, v4
	v_cmp_gt_i32_e32 vcc, 1, v10
	v_cndmask_b32_e32 v8, v11, v8, vcc
	v_and_b32_e32 v11, 7, v8
	v_cmp_lt_i32_e32 vcc, 5, v11
	v_cmp_eq_u32_e64 s[0:1], 3, v11
	v_lshrrev_b32_e32 v8, 2, v8
	s_or_b64 vcc, s[0:1], vcc
	v_addc_co_u32_e32 v8, vcc, 0, v8, vcc
	v_cmp_gt_i32_e32 vcc, 31, v10
	v_cndmask_b32_e32 v8, v6, v8, vcc
	v_cmp_ne_u32_e32 vcc, 0, v4
	v_cndmask_b32_e64 v4, 0, 1, vcc
	v_lshl_or_b32 v4, v4, 9, v6
	v_cmp_eq_u32_e32 vcc, s16, v10
	v_cndmask_b32_e32 v4, v8, v4, vcc
	v_lshrrev_b32_e32 v8, 16, v1
	s_waitcnt vmcnt(6)
	v_mul_f16_sdwa v10, v8, v12 dst_sel:DWORD dst_unused:UNUSED_PAD src0_sel:DWORD src1_sel:WORD_1
	v_fma_f16 v10, v1, v12, v10
	v_cvt_f32_f16_e32 v10, v10
	v_lshrrev_b32_e32 v5, 16, v5
	v_and_or_b32 v4, v5, s10, v4
	v_and_b32_e32 v0, 0xffff, v0
	v_lshl_or_b32 v0, v4, 16, v0
	v_cvt_f64_f32_e32 v[4:5], v10
	s_mul_i32 s0, s9, 0xc4
	s_mul_hi_u32 s2, s8, 0xc4
	s_add_i32 s2, s2, s0
	v_mul_f64 v[4:5], v[4:5], s[14:15]
	s_mul_i32 s3, s8, 0xc4
	v_mov_b32_e32 v10, s2
	v_add_co_u32_e32 v2, vcc, s3, v2
	v_addc_co_u32_e32 v3, vcc, v3, v10, vcc
	global_store_dword v[2:3], v0, off
	v_and_or_b32 v0, v5, s18, v4
	v_cmp_ne_u32_e32 vcc, 0, v0
	v_cndmask_b32_e64 v0, 0, 1, vcc
	v_lshrrev_b32_e32 v4, 8, v5
	v_bfe_u32 v10, v5, 20, 11
	v_and_or_b32 v4, v4, s17, v0
	v_sub_u32_e32 v11, 0x3f1, v10
	v_or_b32_e32 v0, 0x1000, v4
	v_med3_i32 v11, v11, 0, 13
	v_lshrrev_b32_e32 v17, v11, v0
	v_mul_f16_sdwa v1, v1, v12 dst_sel:DWORD dst_unused:UNUSED_PAD src0_sel:DWORD src1_sel:WORD_1
	v_lshlrev_b32_e32 v11, v11, v17
	v_fma_f16 v1, v12, v8, -v1
	v_cmp_ne_u32_e32 vcc, v11, v0
	v_cvt_f32_f16_e32 v1, v1
	v_cndmask_b32_e64 v0, 0, 1, vcc
	v_add_u32_e32 v10, 0xfffffc10, v10
	v_or_b32_e32 v0, v17, v0
	v_lshl_or_b32 v11, v10, 12, v4
	v_cmp_gt_i32_e32 vcc, 1, v10
	v_cndmask_b32_e32 v0, v11, v0, vcc
	v_and_b32_e32 v11, 7, v0
	v_lshrrev_b32_e32 v8, 2, v0
	v_cvt_f64_f32_e32 v[0:1], v1
	v_cmp_lt_i32_e32 vcc, 5, v11
	v_cmp_eq_u32_e64 s[0:1], 3, v11
	s_or_b64 vcc, s[0:1], vcc
	v_mul_f64 v[0:1], v[0:1], s[14:15]
	v_addc_co_u32_e32 v8, vcc, 0, v8, vcc
	v_cmp_gt_i32_e32 vcc, 31, v10
	v_cndmask_b32_e32 v8, v6, v8, vcc
	v_cmp_ne_u32_e32 vcc, 0, v4
	v_cndmask_b32_e64 v4, 0, 1, vcc
	v_lshl_or_b32 v4, v4, 9, v6
	v_cmp_eq_u32_e32 vcc, s16, v10
	v_and_or_b32 v0, v1, s18, v0
	v_cndmask_b32_e32 v4, v8, v4, vcc
	v_lshrrev_b32_e32 v5, 16, v5
	v_cmp_ne_u32_e32 vcc, 0, v0
	v_and_or_b32 v8, v5, s10, v4
	v_cndmask_b32_e64 v0, 0, 1, vcc
	v_lshrrev_b32_e32 v4, 8, v1
	v_bfe_u32 v5, v1, 20, 11
	v_and_or_b32 v0, v4, s17, v0
	v_sub_u32_e32 v10, 0x3f1, v5
	v_or_b32_e32 v4, 0x1000, v0
	v_med3_i32 v10, v10, 0, 13
	v_lshrrev_b32_e32 v11, v10, v4
	v_lshlrev_b32_e32 v10, v10, v11
	v_cmp_ne_u32_e32 vcc, v10, v4
	v_cndmask_b32_e64 v4, 0, 1, vcc
	v_add_u32_e32 v10, 0xfffffc10, v5
	v_or_b32_e32 v4, v11, v4
	v_lshl_or_b32 v5, v10, 12, v0
	v_cmp_gt_i32_e32 vcc, 1, v10
	v_cndmask_b32_e32 v4, v5, v4, vcc
	v_and_b32_e32 v5, 7, v4
	v_cmp_lt_i32_e32 vcc, 5, v5
	v_cmp_eq_u32_e64 s[0:1], 3, v5
	v_lshrrev_b32_e32 v4, 2, v4
	s_or_b64 vcc, s[0:1], vcc
	v_addc_co_u32_e32 v11, vcc, 0, v4, vcc
	ds_read2_b32 v[4:5], v25 offset0:147 offset1:196
	v_cmp_gt_i32_e32 vcc, 31, v10
	v_cndmask_b32_e32 v11, v6, v11, vcc
	v_cmp_ne_u32_e32 vcc, 0, v0
	v_cndmask_b32_e64 v0, 0, 1, vcc
	s_waitcnt lgkmcnt(0)
	v_lshrrev_b32_e32 v12, 16, v4
	s_waitcnt vmcnt(6)
	v_mul_f16_sdwa v17, v12, v13 dst_sel:DWORD dst_unused:UNUSED_PAD src0_sel:DWORD src1_sel:WORD_1
	v_fma_f16 v17, v4, v13, v17
	v_cvt_f32_f16_e32 v17, v17
	v_lshl_or_b32 v0, v0, 9, v6
	v_cmp_eq_u32_e32 vcc, s16, v10
	v_cndmask_b32_e32 v0, v11, v0, vcc
	v_cvt_f64_f32_e32 v[10:11], v17
	v_lshrrev_b32_e32 v1, 16, v1
	v_and_or_b32 v17, v1, s10, v0
	v_add_co_u32_e32 v2, vcc, s3, v2
	v_mul_f64 v[0:1], v[10:11], s[14:15]
	v_mov_b32_e32 v10, s2
	v_and_b32_e32 v8, 0xffff, v8
	v_addc_co_u32_e32 v3, vcc, v3, v10, vcc
	v_lshl_or_b32 v8, v17, 16, v8
	global_store_dword v[2:3], v8, off
	v_mul_f16_sdwa v4, v4, v13 dst_sel:DWORD dst_unused:UNUSED_PAD src0_sel:DWORD src1_sel:WORD_1
	v_and_or_b32 v0, v1, s18, v0
	v_cmp_ne_u32_e32 vcc, 0, v0
	v_cndmask_b32_e64 v0, 0, 1, vcc
	v_lshrrev_b32_e32 v8, 8, v1
	v_bfe_u32 v10, v1, 20, 11
	v_and_or_b32 v0, v8, s17, v0
	v_sub_u32_e32 v11, 0x3f1, v10
	v_or_b32_e32 v8, 0x1000, v0
	v_med3_i32 v11, v11, 0, 13
	v_lshrrev_b32_e32 v17, v11, v8
	v_lshlrev_b32_e32 v11, v11, v17
	v_cmp_ne_u32_e32 vcc, v11, v8
	v_cndmask_b32_e64 v8, 0, 1, vcc
	v_fma_f16 v4, v13, v12, -v4
	v_or_b32_e32 v8, v17, v8
	v_add_u32_e32 v17, 0xfffffc10, v10
	v_cvt_f32_f16_e32 v4, v4
	v_lshl_or_b32 v10, v17, 12, v0
	v_cmp_gt_i32_e32 vcc, 1, v17
	v_cndmask_b32_e32 v8, v10, v8, vcc
	v_and_b32_e32 v10, 7, v8
	v_cmp_lt_i32_e32 vcc, 5, v10
	v_cmp_eq_u32_e64 s[0:1], 3, v10
	v_cvt_f64_f32_e32 v[10:11], v4
	v_lshrrev_b32_e32 v8, 2, v8
	s_or_b64 vcc, s[0:1], vcc
	v_addc_co_u32_e32 v4, vcc, 0, v8, vcc
	v_mul_f64 v[10:11], v[10:11], s[14:15]
	v_cmp_gt_i32_e32 vcc, 31, v17
	v_cndmask_b32_e32 v4, v6, v4, vcc
	v_cmp_ne_u32_e32 vcc, 0, v0
	v_cndmask_b32_e64 v0, 0, 1, vcc
	v_lshl_or_b32 v0, v0, 9, v6
	v_cmp_eq_u32_e32 vcc, s16, v17
	v_cndmask_b32_e32 v0, v4, v0, vcc
	v_lshrrev_b32_e32 v1, 16, v1
	v_and_or_b32 v4, v1, s10, v0
	v_and_or_b32 v0, v11, s18, v10
	v_cmp_ne_u32_e32 vcc, 0, v0
	v_cndmask_b32_e64 v0, 0, 1, vcc
	v_lshrrev_b32_e32 v1, 8, v11
	v_bfe_u32 v8, v11, 20, 11
	v_and_or_b32 v0, v1, s17, v0
	v_sub_u32_e32 v10, 0x3f1, v8
	v_or_b32_e32 v1, 0x1000, v0
	v_med3_i32 v10, v10, 0, 13
	v_lshrrev_b32_e32 v12, v10, v1
	v_lshlrev_b32_e32 v10, v10, v12
	v_cmp_ne_u32_e32 vcc, v10, v1
	v_cndmask_b32_e64 v1, 0, 1, vcc
	v_add_u32_e32 v8, 0xfffffc10, v8
	v_or_b32_e32 v1, v12, v1
	v_lshl_or_b32 v10, v8, 12, v0
	v_cmp_gt_i32_e32 vcc, 1, v8
	v_cndmask_b32_e32 v1, v10, v1, vcc
	v_and_b32_e32 v10, 7, v1
	v_cmp_lt_i32_e32 vcc, 5, v10
	v_cmp_eq_u32_e64 s[0:1], 3, v10
	v_lshrrev_b32_e32 v10, 16, v5
	v_lshrrev_b32_e32 v1, 2, v1
	s_or_b64 vcc, s[0:1], vcc
	s_waitcnt vmcnt(6)
	v_mul_f16_sdwa v12, v10, v14 dst_sel:DWORD dst_unused:UNUSED_PAD src0_sel:DWORD src1_sel:WORD_1
	v_addc_co_u32_e32 v1, vcc, 0, v1, vcc
	v_fma_f16 v12, v5, v14, v12
	v_cmp_gt_i32_e32 vcc, 31, v8
	v_cvt_f32_f16_e32 v12, v12
	v_cndmask_b32_e32 v1, v6, v1, vcc
	v_cmp_ne_u32_e32 vcc, 0, v0
	v_cndmask_b32_e64 v0, 0, 1, vcc
	v_lshl_or_b32 v0, v0, 9, v6
	v_cmp_eq_u32_e32 vcc, s16, v8
	v_cndmask_b32_e32 v8, v1, v0, vcc
	v_cvt_f64_f32_e32 v[0:1], v12
	v_lshrrev_b32_e32 v11, 16, v11
	v_and_or_b32 v8, v11, s10, v8
	v_and_b32_e32 v4, 0xffff, v4
	v_mul_f64 v[0:1], v[0:1], s[14:15]
	v_lshl_or_b32 v4, v8, 16, v4
	v_mov_b32_e32 v8, s2
	v_add_co_u32_e32 v2, vcc, s3, v2
	v_addc_co_u32_e32 v3, vcc, v3, v8, vcc
	global_store_dword v[2:3], v4, off
	v_and_or_b32 v0, v1, s18, v0
	v_cmp_ne_u32_e32 vcc, 0, v0
	v_cndmask_b32_e64 v0, 0, 1, vcc
	v_lshrrev_b32_e32 v4, 8, v1
	v_bfe_u32 v8, v1, 20, 11
	v_and_or_b32 v0, v4, s17, v0
	v_sub_u32_e32 v11, 0x3f1, v8
	v_or_b32_e32 v4, 0x1000, v0
	v_med3_i32 v11, v11, 0, 13
	v_lshrrev_b32_e32 v12, v11, v4
	v_mul_f16_sdwa v5, v5, v14 dst_sel:DWORD dst_unused:UNUSED_PAD src0_sel:DWORD src1_sel:WORD_1
	v_lshlrev_b32_e32 v11, v11, v12
	v_fma_f16 v5, v14, v10, -v5
	v_cmp_ne_u32_e32 vcc, v11, v4
	v_cvt_f32_f16_e32 v5, v5
	v_cndmask_b32_e64 v4, 0, 1, vcc
	v_add_u32_e32 v8, 0xfffffc10, v8
	v_or_b32_e32 v4, v12, v4
	v_lshl_or_b32 v11, v8, 12, v0
	v_cmp_gt_i32_e32 vcc, 1, v8
	v_cndmask_b32_e32 v4, v11, v4, vcc
	v_and_b32_e32 v11, 7, v4
	v_lshrrev_b32_e32 v10, 2, v4
	v_cvt_f64_f32_e32 v[4:5], v5
	v_cmp_lt_i32_e32 vcc, 5, v11
	v_cmp_eq_u32_e64 s[0:1], 3, v11
	s_or_b64 vcc, s[0:1], vcc
	v_mul_f64 v[4:5], v[4:5], s[14:15]
	v_addc_co_u32_e32 v10, vcc, 0, v10, vcc
	v_cmp_gt_i32_e32 vcc, 31, v8
	v_cndmask_b32_e32 v10, v6, v10, vcc
	v_cmp_ne_u32_e32 vcc, 0, v0
	v_cndmask_b32_e64 v0, 0, 1, vcc
	v_lshl_or_b32 v0, v0, 9, v6
	v_cmp_eq_u32_e32 vcc, s16, v8
	v_cndmask_b32_e32 v0, v10, v0, vcc
	v_lshrrev_b32_e32 v1, 16, v1
	v_and_or_b32 v8, v1, s10, v0
	v_and_or_b32 v0, v5, s18, v4
	v_cmp_ne_u32_e32 vcc, 0, v0
	v_cndmask_b32_e64 v0, 0, 1, vcc
	v_lshrrev_b32_e32 v1, 8, v5
	v_and_or_b32 v4, v1, s17, v0
	v_bfe_u32 v1, v5, 20, 11
	v_sub_u32_e32 v10, 0x3f1, v1
	v_or_b32_e32 v0, 0x1000, v4
	v_med3_i32 v10, v10, 0, 13
	v_lshrrev_b32_e32 v11, v10, v0
	v_lshlrev_b32_e32 v10, v10, v11
	v_cmp_ne_u32_e32 vcc, v10, v0
	v_cndmask_b32_e64 v0, 0, 1, vcc
	v_add_u32_e32 v10, 0xfffffc10, v1
	v_or_b32_e32 v0, v11, v0
	v_lshl_or_b32 v1, v10, 12, v4
	v_cmp_gt_i32_e32 vcc, 1, v10
	v_cndmask_b32_e32 v0, v1, v0, vcc
	v_and_b32_e32 v1, 7, v0
	v_cmp_lt_i32_e32 vcc, 5, v1
	v_cmp_eq_u32_e64 s[0:1], 3, v1
	v_lshrrev_b32_e32 v0, 2, v0
	s_or_b64 vcc, s[0:1], vcc
	v_addc_co_u32_e32 v11, vcc, 0, v0, vcc
	v_add_u32_e32 v0, 0x200, v25
	ds_read2_b32 v[0:1], v0 offset0:117 offset1:166
	v_cmp_gt_i32_e32 vcc, 31, v10
	v_cndmask_b32_e32 v11, v6, v11, vcc
	v_cmp_ne_u32_e32 vcc, 0, v4
	v_cndmask_b32_e64 v4, 0, 1, vcc
	s_waitcnt lgkmcnt(0)
	v_lshrrev_b32_e32 v12, 16, v0
	s_waitcnt vmcnt(6)
	v_mul_f16_sdwa v13, v12, v15 dst_sel:DWORD dst_unused:UNUSED_PAD src0_sel:DWORD src1_sel:WORD_1
	v_fma_f16 v13, v0, v15, v13
	v_cvt_f32_f16_e32 v13, v13
	v_lshl_or_b32 v4, v4, 9, v6
	v_cmp_eq_u32_e32 vcc, s16, v10
	v_cndmask_b32_e32 v4, v11, v4, vcc
	v_cvt_f64_f32_e32 v[10:11], v13
	v_lshrrev_b32_e32 v5, 16, v5
	v_and_or_b32 v13, v5, s10, v4
	v_add_co_u32_e32 v2, vcc, s3, v2
	v_mul_f64 v[4:5], v[10:11], s[14:15]
	v_mov_b32_e32 v10, s2
	v_and_b32_e32 v8, 0xffff, v8
	v_addc_co_u32_e32 v3, vcc, v3, v10, vcc
	v_lshl_or_b32 v8, v13, 16, v8
	global_store_dword v[2:3], v8, off
	v_mul_f16_sdwa v0, v0, v15 dst_sel:DWORD dst_unused:UNUSED_PAD src0_sel:DWORD src1_sel:WORD_1
	v_and_or_b32 v4, v5, s18, v4
	v_cmp_ne_u32_e32 vcc, 0, v4
	v_cndmask_b32_e64 v4, 0, 1, vcc
	v_lshrrev_b32_e32 v8, 8, v5
	v_bfe_u32 v10, v5, 20, 11
	v_and_or_b32 v4, v8, s17, v4
	v_sub_u32_e32 v11, 0x3f1, v10
	v_or_b32_e32 v8, 0x1000, v4
	v_med3_i32 v11, v11, 0, 13
	v_lshrrev_b32_e32 v13, v11, v8
	v_lshlrev_b32_e32 v11, v11, v13
	v_cmp_ne_u32_e32 vcc, v11, v8
	v_cndmask_b32_e64 v8, 0, 1, vcc
	v_fma_f16 v0, v15, v12, -v0
	v_or_b32_e32 v8, v13, v8
	v_add_u32_e32 v13, 0xfffffc10, v10
	v_cvt_f32_f16_e32 v0, v0
	v_lshl_or_b32 v10, v13, 12, v4
	v_cmp_gt_i32_e32 vcc, 1, v13
	v_cndmask_b32_e32 v8, v10, v8, vcc
	v_and_b32_e32 v10, 7, v8
	v_cmp_lt_i32_e32 vcc, 5, v10
	v_cmp_eq_u32_e64 s[0:1], 3, v10
	v_cvt_f64_f32_e32 v[10:11], v0
	v_lshrrev_b32_e32 v8, 2, v8
	s_or_b64 vcc, s[0:1], vcc
	v_addc_co_u32_e32 v0, vcc, 0, v8, vcc
	v_mul_f64 v[10:11], v[10:11], s[14:15]
	v_cmp_gt_i32_e32 vcc, 31, v13
	v_cndmask_b32_e32 v0, v6, v0, vcc
	v_cmp_ne_u32_e32 vcc, 0, v4
	v_cndmask_b32_e64 v4, 0, 1, vcc
	v_lshl_or_b32 v4, v4, 9, v6
	v_cmp_eq_u32_e32 vcc, s16, v13
	v_cndmask_b32_e32 v0, v0, v4, vcc
	v_lshrrev_b32_e32 v4, 16, v5
	v_and_or_b32 v0, v4, s10, v0
	v_and_or_b32 v4, v11, s18, v10
	v_cmp_ne_u32_e32 vcc, 0, v4
	v_cndmask_b32_e64 v4, 0, 1, vcc
	v_lshrrev_b32_e32 v5, 8, v11
	v_bfe_u32 v8, v11, 20, 11
	v_and_or_b32 v4, v5, s17, v4
	v_sub_u32_e32 v10, 0x3f1, v8
	v_or_b32_e32 v5, 0x1000, v4
	v_med3_i32 v10, v10, 0, 13
	v_lshrrev_b32_e32 v12, v10, v5
	v_lshlrev_b32_e32 v10, v10, v12
	v_cmp_ne_u32_e32 vcc, v10, v5
	v_cndmask_b32_e64 v5, 0, 1, vcc
	v_add_u32_e32 v8, 0xfffffc10, v8
	v_or_b32_e32 v5, v12, v5
	v_lshl_or_b32 v10, v8, 12, v4
	v_cmp_gt_i32_e32 vcc, 1, v8
	v_cndmask_b32_e32 v5, v10, v5, vcc
	v_and_b32_e32 v10, 7, v5
	v_cmp_lt_i32_e32 vcc, 5, v10
	v_cmp_eq_u32_e64 s[0:1], 3, v10
	v_lshrrev_b32_e32 v10, 16, v1
	v_lshrrev_b32_e32 v5, 2, v5
	s_or_b64 vcc, s[0:1], vcc
	s_waitcnt vmcnt(6)
	v_mul_f16_sdwa v12, v10, v16 dst_sel:DWORD dst_unused:UNUSED_PAD src0_sel:DWORD src1_sel:WORD_1
	v_addc_co_u32_e32 v5, vcc, 0, v5, vcc
	v_fma_f16 v12, v1, v16, v12
	v_cmp_gt_i32_e32 vcc, 31, v8
	v_cvt_f32_f16_e32 v12, v12
	v_cndmask_b32_e32 v5, v6, v5, vcc
	v_cmp_ne_u32_e32 vcc, 0, v4
	v_cndmask_b32_e64 v4, 0, 1, vcc
	v_lshl_or_b32 v4, v4, 9, v6
	v_cmp_eq_u32_e32 vcc, s16, v8
	v_cndmask_b32_e32 v8, v5, v4, vcc
	v_cvt_f64_f32_e32 v[4:5], v12
	v_lshrrev_b32_e32 v11, 16, v11
	v_and_or_b32 v8, v11, s10, v8
	v_and_b32_e32 v0, 0xffff, v0
	v_mul_f64 v[4:5], v[4:5], s[14:15]
	v_lshl_or_b32 v0, v8, 16, v0
	v_mov_b32_e32 v8, s2
	v_add_co_u32_e32 v2, vcc, s3, v2
	v_addc_co_u32_e32 v3, vcc, v3, v8, vcc
	global_store_dword v[2:3], v0, off
	v_and_or_b32 v0, v5, s18, v4
	v_cmp_ne_u32_e32 vcc, 0, v0
	v_cndmask_b32_e64 v0, 0, 1, vcc
	v_lshrrev_b32_e32 v4, 8, v5
	v_bfe_u32 v8, v5, 20, 11
	v_and_or_b32 v4, v4, s17, v0
	v_sub_u32_e32 v11, 0x3f1, v8
	v_or_b32_e32 v0, 0x1000, v4
	v_med3_i32 v11, v11, 0, 13
	v_lshrrev_b32_e32 v12, v11, v0
	v_mul_f16_sdwa v1, v1, v16 dst_sel:DWORD dst_unused:UNUSED_PAD src0_sel:DWORD src1_sel:WORD_1
	v_lshlrev_b32_e32 v11, v11, v12
	v_fma_f16 v1, v16, v10, -v1
	v_cmp_ne_u32_e32 vcc, v11, v0
	v_cvt_f32_f16_e32 v1, v1
	v_cndmask_b32_e64 v0, 0, 1, vcc
	v_add_u32_e32 v8, 0xfffffc10, v8
	v_or_b32_e32 v0, v12, v0
	v_lshl_or_b32 v11, v8, 12, v4
	v_cmp_gt_i32_e32 vcc, 1, v8
	v_cndmask_b32_e32 v0, v11, v0, vcc
	v_and_b32_e32 v11, 7, v0
	v_lshrrev_b32_e32 v10, 2, v0
	v_cvt_f64_f32_e32 v[0:1], v1
	v_cmp_lt_i32_e32 vcc, 5, v11
	v_cmp_eq_u32_e64 s[0:1], 3, v11
	s_or_b64 vcc, s[0:1], vcc
	v_mul_f64 v[0:1], v[0:1], s[14:15]
	v_addc_co_u32_e32 v10, vcc, 0, v10, vcc
	v_cmp_gt_i32_e32 vcc, 31, v8
	v_cndmask_b32_e32 v10, v6, v10, vcc
	v_cmp_ne_u32_e32 vcc, 0, v4
	v_cndmask_b32_e64 v4, 0, 1, vcc
	v_lshl_or_b32 v4, v4, 9, v6
	v_cmp_eq_u32_e32 vcc, s16, v8
	v_and_or_b32 v0, v1, s18, v0
	v_cndmask_b32_e32 v4, v10, v4, vcc
	v_lshrrev_b32_e32 v5, 16, v5
	v_cmp_ne_u32_e32 vcc, 0, v0
	v_and_or_b32 v8, v5, s10, v4
	v_cndmask_b32_e64 v0, 0, 1, vcc
	v_lshrrev_b32_e32 v4, 8, v1
	v_bfe_u32 v5, v1, 20, 11
	v_and_or_b32 v0, v4, s17, v0
	v_sub_u32_e32 v10, 0x3f1, v5
	v_or_b32_e32 v4, 0x1000, v0
	v_med3_i32 v10, v10, 0, 13
	v_lshrrev_b32_e32 v11, v10, v4
	v_lshlrev_b32_e32 v10, v10, v11
	v_cmp_ne_u32_e32 vcc, v10, v4
	v_cndmask_b32_e64 v4, 0, 1, vcc
	v_add_u32_e32 v10, 0xfffffc10, v5
	v_or_b32_e32 v4, v11, v4
	v_lshl_or_b32 v5, v10, 12, v0
	v_cmp_gt_i32_e32 vcc, 1, v10
	v_cndmask_b32_e32 v4, v5, v4, vcc
	v_and_b32_e32 v5, 7, v4
	v_cmp_lt_i32_e32 vcc, 5, v5
	v_cmp_eq_u32_e64 s[0:1], 3, v5
	v_lshrrev_b32_e32 v4, 2, v4
	s_or_b64 vcc, s[0:1], vcc
	v_addc_co_u32_e32 v11, vcc, 0, v4, vcc
	v_cmp_gt_i32_e32 vcc, 31, v10
	v_cndmask_b32_e32 v11, v6, v11, vcc
	v_cmp_ne_u32_e32 vcc, 0, v0
	v_cndmask_b32_e64 v0, 0, 1, vcc
	v_lshl_or_b32 v0, v0, 9, v6
	v_cmp_eq_u32_e32 vcc, s16, v10
	v_cndmask_b32_e32 v10, v11, v0, vcc
	v_lshrrev_b32_e32 v11, 16, v1
	v_and_or_b32 v10, v11, s10, v10
	global_load_dword v11, v23, s[6:7] offset:1568
	ds_read2_b32 v[4:5], v7 offset0:87 offset1:136
	v_and_b32_e32 v8, 0xffff, v8
	v_lshl_or_b32 v8, v10, 16, v8
	v_mov_b32_e32 v10, s2
	v_add_co_u32_e32 v2, vcc, s3, v2
	s_waitcnt lgkmcnt(0)
	v_lshrrev_b32_e32 v12, 16, v4
	s_waitcnt vmcnt(7)
	v_mul_f16_sdwa v13, v12, v9 dst_sel:DWORD dst_unused:UNUSED_PAD src0_sel:DWORD src1_sel:WORD_1
	v_fma_f16 v13, v4, v9, v13
	v_cvt_f32_f16_e32 v13, v13
	v_addc_co_u32_e32 v3, vcc, v3, v10, vcc
	global_store_dword v[2:3], v8, off
	v_cvt_f64_f32_e32 v[0:1], v13
	v_mul_f16_sdwa v4, v4, v9 dst_sel:DWORD dst_unused:UNUSED_PAD src0_sel:DWORD src1_sel:WORD_1
	v_fma_f16 v4, v9, v12, -v4
	v_cvt_f32_f16_e32 v4, v4
	v_mul_f64 v[0:1], v[0:1], s[14:15]
	v_and_or_b32 v0, v1, s18, v0
	v_cmp_ne_u32_e32 vcc, 0, v0
	v_cndmask_b32_e64 v0, 0, 1, vcc
	v_lshrrev_b32_e32 v8, 8, v1
	v_bfe_u32 v10, v1, 20, 11
	v_and_or_b32 v0, v8, s17, v0
	v_sub_u32_e32 v13, 0x3f1, v10
	v_or_b32_e32 v8, 0x1000, v0
	v_med3_i32 v13, v13, 0, 13
	v_lshrrev_b32_e32 v14, v13, v8
	v_lshlrev_b32_e32 v13, v13, v14
	v_cmp_ne_u32_e32 vcc, v13, v8
	v_cndmask_b32_e64 v8, 0, 1, vcc
	v_add_u32_e32 v10, 0xfffffc10, v10
	v_or_b32_e32 v8, v14, v8
	v_lshl_or_b32 v13, v10, 12, v0
	v_cmp_gt_i32_e32 vcc, 1, v10
	v_cndmask_b32_e32 v8, v13, v8, vcc
	v_and_b32_e32 v13, 7, v8
	v_lshrrev_b32_e32 v12, 2, v8
	v_cvt_f64_f32_e32 v[8:9], v4
	v_cmp_lt_i32_e32 vcc, 5, v13
	v_cmp_eq_u32_e64 s[0:1], 3, v13
	s_or_b64 vcc, s[0:1], vcc
	v_mul_f64 v[8:9], v[8:9], s[14:15]
	v_addc_co_u32_e32 v4, vcc, 0, v12, vcc
	v_cmp_gt_i32_e32 vcc, 31, v10
	v_cndmask_b32_e32 v4, v6, v4, vcc
	v_cmp_ne_u32_e32 vcc, 0, v0
	v_cndmask_b32_e64 v0, 0, 1, vcc
	v_lshl_or_b32 v0, v0, 9, v6
	v_cmp_eq_u32_e32 vcc, s16, v10
	v_cndmask_b32_e32 v0, v4, v0, vcc
	v_lshrrev_b32_e32 v1, 16, v1
	v_and_or_b32 v4, v1, s10, v0
	v_and_or_b32 v0, v9, s18, v8
	v_cmp_ne_u32_e32 vcc, 0, v0
	v_cndmask_b32_e64 v0, 0, 1, vcc
	v_lshrrev_b32_e32 v1, 8, v9
	v_bfe_u32 v8, v9, 20, 11
	v_and_or_b32 v0, v1, s17, v0
	v_sub_u32_e32 v10, 0x3f1, v8
	v_or_b32_e32 v1, 0x1000, v0
	v_med3_i32 v10, v10, 0, 13
	v_lshrrev_b32_e32 v12, v10, v1
	v_lshlrev_b32_e32 v10, v10, v12
	v_cmp_ne_u32_e32 vcc, v10, v1
	v_cndmask_b32_e64 v1, 0, 1, vcc
	v_or_b32_e32 v1, v12, v1
	global_load_dword v12, v23, s[6:7] offset:1764
	global_load_dword v13, v23, s[6:7] offset:1960
	v_add_u32_e32 v8, 0xfffffc10, v8
	v_lshl_or_b32 v10, v8, 12, v0
	v_cmp_gt_i32_e32 vcc, 1, v8
	v_cndmask_b32_e32 v1, v10, v1, vcc
	v_and_b32_e32 v10, 7, v1
	v_cmp_lt_i32_e32 vcc, 5, v10
	v_cmp_eq_u32_e64 s[0:1], 3, v10
	v_lshrrev_b32_e32 v10, 16, v5
	v_lshrrev_b32_e32 v1, 2, v1
	s_or_b64 vcc, s[0:1], vcc
	s_waitcnt vmcnt(3)
	v_mul_f16_sdwa v14, v10, v11 dst_sel:DWORD dst_unused:UNUSED_PAD src0_sel:DWORD src1_sel:WORD_1
	v_addc_co_u32_e32 v1, vcc, 0, v1, vcc
	v_fma_f16 v14, v5, v11, v14
	v_cmp_gt_i32_e32 vcc, 31, v8
	v_cvt_f32_f16_e32 v14, v14
	v_cndmask_b32_e32 v1, v6, v1, vcc
	v_cmp_ne_u32_e32 vcc, 0, v0
	v_cndmask_b32_e64 v0, 0, 1, vcc
	v_lshl_or_b32 v0, v0, 9, v6
	v_cmp_eq_u32_e32 vcc, s16, v8
	v_cndmask_b32_e32 v8, v1, v0, vcc
	v_cvt_f64_f32_e32 v[0:1], v14
	v_lshrrev_b32_e32 v9, 16, v9
	v_and_or_b32 v8, v9, s10, v8
	v_and_b32_e32 v4, 0xffff, v4
	v_mul_f64 v[0:1], v[0:1], s[14:15]
	v_lshl_or_b32 v4, v8, 16, v4
	v_mov_b32_e32 v8, s2
	v_add_co_u32_e32 v2, vcc, s3, v2
	v_addc_co_u32_e32 v3, vcc, v3, v8, vcc
	global_store_dword v[2:3], v4, off
	v_and_or_b32 v0, v1, s18, v0
	v_cmp_ne_u32_e32 vcc, 0, v0
	v_cndmask_b32_e64 v0, 0, 1, vcc
	v_lshrrev_b32_e32 v4, 8, v1
	v_bfe_u32 v8, v1, 20, 11
	v_and_or_b32 v0, v4, s17, v0
	v_sub_u32_e32 v9, 0x3f1, v8
	v_or_b32_e32 v4, 0x1000, v0
	v_med3_i32 v9, v9, 0, 13
	v_lshrrev_b32_e32 v14, v9, v4
	v_lshlrev_b32_e32 v9, v9, v14
	v_mul_f16_sdwa v5, v5, v11 dst_sel:DWORD dst_unused:UNUSED_PAD src0_sel:DWORD src1_sel:WORD_1
	v_cmp_ne_u32_e32 vcc, v9, v4
	v_fma_f16 v5, v11, v10, -v5
	v_cndmask_b32_e64 v4, 0, 1, vcc
	v_add_u32_e32 v8, 0xfffffc10, v8
	v_cvt_f32_f16_e32 v5, v5
	v_or_b32_e32 v4, v14, v4
	v_lshl_or_b32 v9, v8, 12, v0
	v_cmp_gt_i32_e32 vcc, 1, v8
	v_cndmask_b32_e32 v4, v9, v4, vcc
	v_and_b32_e32 v9, 7, v4
	v_cmp_lt_i32_e32 vcc, 5, v9
	v_cmp_eq_u32_e64 s[0:1], 3, v9
	v_lshrrev_b32_e32 v9, 2, v4
	v_cvt_f64_f32_e32 v[4:5], v5
	s_or_b64 vcc, s[0:1], vcc
	v_addc_co_u32_e32 v9, vcc, 0, v9, vcc
	v_mul_f64 v[4:5], v[4:5], s[14:15]
	v_cmp_gt_i32_e32 vcc, 31, v8
	v_cndmask_b32_e32 v9, v6, v9, vcc
	v_cmp_ne_u32_e32 vcc, 0, v0
	v_cndmask_b32_e64 v0, 0, 1, vcc
	v_lshl_or_b32 v0, v0, 9, v6
	v_cmp_eq_u32_e32 vcc, s16, v8
	v_cndmask_b32_e32 v0, v9, v0, vcc
	v_lshrrev_b32_e32 v1, 16, v1
	v_and_or_b32 v9, v1, s10, v0
	v_and_or_b32 v0, v5, s18, v4
	v_cmp_ne_u32_e32 vcc, 0, v0
	v_cndmask_b32_e64 v0, 0, 1, vcc
	v_lshrrev_b32_e32 v1, 8, v5
	v_and_or_b32 v4, v1, s17, v0
	v_bfe_u32 v1, v5, 20, 11
	v_sub_u32_e32 v8, 0x3f1, v1
	v_or_b32_e32 v0, 0x1000, v4
	v_med3_i32 v8, v8, 0, 13
	v_lshrrev_b32_e32 v10, v8, v0
	v_lshlrev_b32_e32 v8, v8, v10
	v_cmp_ne_u32_e32 vcc, v8, v0
	v_cndmask_b32_e64 v0, 0, 1, vcc
	v_add_u32_e32 v8, 0xfffffc10, v1
	v_or_b32_e32 v0, v10, v0
	v_lshl_or_b32 v1, v8, 12, v4
	v_cmp_gt_i32_e32 vcc, 1, v8
	v_cndmask_b32_e32 v0, v1, v0, vcc
	v_and_b32_e32 v1, 7, v0
	v_cmp_lt_i32_e32 vcc, 5, v1
	v_cmp_eq_u32_e64 s[0:1], 3, v1
	v_lshrrev_b32_e32 v0, 2, v0
	s_or_b64 vcc, s[0:1], vcc
	v_addc_co_u32_e32 v10, vcc, 0, v0, vcc
	ds_read2_b32 v[0:1], v7 offset0:185 offset1:234
	v_cmp_gt_i32_e32 vcc, 31, v8
	v_cndmask_b32_e32 v7, v6, v10, vcc
	v_cmp_ne_u32_e32 vcc, 0, v4
	v_cndmask_b32_e64 v4, 0, 1, vcc
	s_waitcnt lgkmcnt(0)
	v_lshrrev_b32_e32 v10, 16, v0
	s_waitcnt vmcnt(2)
	v_mul_f16_sdwa v11, v10, v12 dst_sel:DWORD dst_unused:UNUSED_PAD src0_sel:DWORD src1_sel:WORD_1
	v_fma_f16 v11, v0, v12, v11
	v_cvt_f32_f16_e32 v11, v11
	v_lshl_or_b32 v4, v4, 9, v6
	v_cmp_eq_u32_e32 vcc, s16, v8
	v_cndmask_b32_e32 v4, v7, v4, vcc
	v_cvt_f64_f32_e32 v[7:8], v11
	v_lshrrev_b32_e32 v5, 16, v5
	v_and_or_b32 v11, v5, s10, v4
	v_add_co_u32_e32 v2, vcc, s3, v2
	v_mul_f64 v[4:5], v[7:8], s[14:15]
	v_mov_b32_e32 v8, s2
	v_and_b32_e32 v9, 0xffff, v9
	v_addc_co_u32_e32 v3, vcc, v3, v8, vcc
	v_lshl_or_b32 v7, v11, 16, v9
	global_store_dword v[2:3], v7, off
	v_mul_f16_sdwa v0, v0, v12 dst_sel:DWORD dst_unused:UNUSED_PAD src0_sel:DWORD src1_sel:WORD_1
	v_and_or_b32 v4, v5, s18, v4
	v_cmp_ne_u32_e32 vcc, 0, v4
	v_cndmask_b32_e64 v4, 0, 1, vcc
	v_lshrrev_b32_e32 v7, 8, v5
	v_bfe_u32 v8, v5, 20, 11
	v_and_or_b32 v4, v7, s17, v4
	v_sub_u32_e32 v9, 0x3f1, v8
	v_or_b32_e32 v7, 0x1000, v4
	v_med3_i32 v9, v9, 0, 13
	v_lshrrev_b32_e32 v11, v9, v7
	v_lshlrev_b32_e32 v9, v9, v11
	v_cmp_ne_u32_e32 vcc, v9, v7
	v_fma_f16 v0, v12, v10, -v0
	v_cndmask_b32_e64 v7, 0, 1, vcc
	v_add_u32_e32 v9, 0xfffffc10, v8
	v_cvt_f32_f16_e32 v0, v0
	v_or_b32_e32 v7, v11, v7
	v_lshl_or_b32 v8, v9, 12, v4
	v_cmp_gt_i32_e32 vcc, 1, v9
	v_cndmask_b32_e32 v7, v8, v7, vcc
	v_and_b32_e32 v8, 7, v7
	v_cmp_lt_i32_e32 vcc, 5, v8
	v_cmp_eq_u32_e64 s[0:1], 3, v8
	v_lshrrev_b32_e32 v10, 2, v7
	v_cvt_f64_f32_e32 v[7:8], v0
	s_or_b64 vcc, s[0:1], vcc
	v_addc_co_u32_e32 v0, vcc, 0, v10, vcc
	v_mul_f64 v[7:8], v[7:8], s[14:15]
	v_cmp_gt_i32_e32 vcc, 31, v9
	v_cndmask_b32_e32 v0, v6, v0, vcc
	v_cmp_ne_u32_e32 vcc, 0, v4
	v_cndmask_b32_e64 v4, 0, 1, vcc
	v_lshl_or_b32 v4, v4, 9, v6
	v_cmp_eq_u32_e32 vcc, s16, v9
	v_cndmask_b32_e32 v0, v0, v4, vcc
	v_lshrrev_b32_e32 v4, 16, v5
	v_and_or_b32 v0, v4, s10, v0
	v_and_or_b32 v4, v8, s18, v7
	v_cmp_ne_u32_e32 vcc, 0, v4
	v_cndmask_b32_e64 v4, 0, 1, vcc
	v_lshrrev_b32_e32 v5, 8, v8
	v_bfe_u32 v7, v8, 20, 11
	v_and_or_b32 v4, v5, s17, v4
	v_sub_u32_e32 v9, 0x3f1, v7
	v_or_b32_e32 v5, 0x1000, v4
	v_med3_i32 v9, v9, 0, 13
	v_lshrrev_b32_e32 v10, v9, v5
	v_lshlrev_b32_e32 v9, v9, v10
	v_cmp_ne_u32_e32 vcc, v9, v5
	v_cndmask_b32_e64 v5, 0, 1, vcc
	v_add_u32_e32 v7, 0xfffffc10, v7
	v_or_b32_e32 v5, v10, v5
	v_lshl_or_b32 v9, v7, 12, v4
	v_cmp_gt_i32_e32 vcc, 1, v7
	v_cndmask_b32_e32 v5, v9, v5, vcc
	v_and_b32_e32 v9, 7, v5
	v_cmp_lt_i32_e32 vcc, 5, v9
	v_cmp_eq_u32_e64 s[0:1], 3, v9
	v_lshrrev_b32_e32 v9, 16, v1
	v_lshrrev_b32_e32 v5, 2, v5
	s_or_b64 vcc, s[0:1], vcc
	s_waitcnt vmcnt(2)
	v_mul_f16_sdwa v10, v9, v13 dst_sel:DWORD dst_unused:UNUSED_PAD src0_sel:DWORD src1_sel:WORD_1
	v_addc_co_u32_e32 v5, vcc, 0, v5, vcc
	v_fma_f16 v10, v1, v13, v10
	v_cmp_gt_i32_e32 vcc, 31, v7
	v_cvt_f32_f16_e32 v10, v10
	v_cndmask_b32_e32 v5, v6, v5, vcc
	v_cmp_ne_u32_e32 vcc, 0, v4
	v_cndmask_b32_e64 v4, 0, 1, vcc
	v_lshl_or_b32 v4, v4, 9, v6
	v_cmp_eq_u32_e32 vcc, s16, v7
	v_cndmask_b32_e32 v7, v5, v4, vcc
	v_cvt_f64_f32_e32 v[4:5], v10
	v_lshrrev_b32_e32 v8, 16, v8
	v_and_or_b32 v7, v8, s10, v7
	v_and_b32_e32 v0, 0xffff, v0
	v_mul_f64 v[4:5], v[4:5], s[14:15]
	v_lshl_or_b32 v0, v7, 16, v0
	v_mov_b32_e32 v7, s2
	v_add_co_u32_e32 v2, vcc, s3, v2
	v_addc_co_u32_e32 v3, vcc, v3, v7, vcc
	global_store_dword v[2:3], v0, off
	v_and_or_b32 v0, v5, s18, v4
	v_cmp_ne_u32_e32 vcc, 0, v0
	v_cndmask_b32_e64 v0, 0, 1, vcc
	v_lshrrev_b32_e32 v4, 8, v5
	v_bfe_u32 v7, v5, 20, 11
	v_and_or_b32 v4, v4, s17, v0
	v_sub_u32_e32 v8, 0x3f1, v7
	v_or_b32_e32 v0, 0x1000, v4
	v_med3_i32 v8, v8, 0, 13
	v_lshrrev_b32_e32 v10, v8, v0
	v_lshlrev_b32_e32 v8, v8, v10
	v_mul_f16_sdwa v1, v1, v13 dst_sel:DWORD dst_unused:UNUSED_PAD src0_sel:DWORD src1_sel:WORD_1
	v_cmp_ne_u32_e32 vcc, v8, v0
	v_fma_f16 v1, v13, v9, -v1
	v_cndmask_b32_e64 v0, 0, 1, vcc
	v_add_u32_e32 v7, 0xfffffc10, v7
	v_cvt_f32_f16_e32 v1, v1
	v_or_b32_e32 v0, v10, v0
	v_lshl_or_b32 v8, v7, 12, v4
	v_cmp_gt_i32_e32 vcc, 1, v7
	v_cndmask_b32_e32 v0, v8, v0, vcc
	v_and_b32_e32 v8, 7, v0
	v_cmp_lt_i32_e32 vcc, 5, v8
	v_cmp_eq_u32_e64 s[0:1], 3, v8
	v_lshrrev_b32_e32 v8, 2, v0
	v_cvt_f64_f32_e32 v[0:1], v1
	s_or_b64 vcc, s[0:1], vcc
	v_addc_co_u32_e32 v8, vcc, 0, v8, vcc
	v_mul_f64 v[0:1], v[0:1], s[14:15]
	v_cmp_gt_i32_e32 vcc, 31, v7
	v_cndmask_b32_e32 v8, v6, v8, vcc
	v_cmp_ne_u32_e32 vcc, 0, v4
	v_cndmask_b32_e64 v4, 0, 1, vcc
	v_lshl_or_b32 v4, v4, 9, v6
	v_cmp_eq_u32_e32 vcc, s16, v7
	v_cndmask_b32_e32 v4, v8, v4, vcc
	v_and_or_b32 v0, v1, s18, v0
	v_lshrrev_b32_e32 v5, 16, v5
	v_cmp_ne_u32_e32 vcc, 0, v0
	v_and_or_b32 v4, v5, s10, v4
	v_cndmask_b32_e64 v0, 0, 1, vcc
	v_lshrrev_b32_e32 v5, 8, v1
	v_bfe_u32 v7, v1, 20, 11
	v_and_or_b32 v0, v5, s17, v0
	v_sub_u32_e32 v8, 0x3f1, v7
	v_or_b32_e32 v5, 0x1000, v0
	v_med3_i32 v8, v8, 0, 13
	v_lshrrev_b32_e32 v9, v8, v5
	v_lshlrev_b32_e32 v8, v8, v9
	v_cmp_ne_u32_e32 vcc, v8, v5
	v_cndmask_b32_e64 v5, 0, 1, vcc
	v_add_u32_e32 v7, 0xfffffc10, v7
	v_or_b32_e32 v5, v9, v5
	v_lshl_or_b32 v8, v7, 12, v0
	v_cmp_gt_i32_e32 vcc, 1, v7
	v_cndmask_b32_e32 v5, v8, v5, vcc
	v_and_b32_e32 v8, 7, v5
	v_cmp_lt_i32_e32 vcc, 5, v8
	v_cmp_eq_u32_e64 s[0:1], 3, v8
	v_lshrrev_b32_e32 v5, 2, v5
	s_or_b64 vcc, s[0:1], vcc
	v_addc_co_u32_e32 v5, vcc, 0, v5, vcc
	v_cmp_gt_i32_e32 vcc, 31, v7
	v_cndmask_b32_e32 v5, v6, v5, vcc
	v_cmp_ne_u32_e32 vcc, 0, v0
	v_cndmask_b32_e64 v0, 0, 1, vcc
	v_lshl_or_b32 v0, v0, 9, v6
	v_cmp_eq_u32_e32 vcc, s16, v7
	v_cndmask_b32_e32 v0, v5, v0, vcc
	v_lshrrev_b32_e32 v1, 16, v1
	v_and_or_b32 v0, v1, s10, v0
	v_and_b32_e32 v1, 0xffff, v4
	v_lshl_or_b32 v4, v0, 16, v1
	v_mov_b32_e32 v1, s2
	v_add_co_u32_e32 v0, vcc, s3, v2
	v_addc_co_u32_e32 v1, vcc, v3, v1, vcc
	global_store_dword v[0:1], v4, off
.LBB0_15:
	s_endpgm
	.section	.rodata,"a",@progbits
	.p2align	6, 0x0
	.amdhsa_kernel bluestein_single_back_len539_dim1_half_op_CI_CI
		.amdhsa_group_segment_fixed_size 6468
		.amdhsa_private_segment_fixed_size 0
		.amdhsa_kernarg_size 104
		.amdhsa_user_sgpr_count 6
		.amdhsa_user_sgpr_private_segment_buffer 1
		.amdhsa_user_sgpr_dispatch_ptr 0
		.amdhsa_user_sgpr_queue_ptr 0
		.amdhsa_user_sgpr_kernarg_segment_ptr 1
		.amdhsa_user_sgpr_dispatch_id 0
		.amdhsa_user_sgpr_flat_scratch_init 0
		.amdhsa_user_sgpr_private_segment_size 0
		.amdhsa_uses_dynamic_stack 0
		.amdhsa_system_sgpr_private_segment_wavefront_offset 0
		.amdhsa_system_sgpr_workgroup_id_x 1
		.amdhsa_system_sgpr_workgroup_id_y 0
		.amdhsa_system_sgpr_workgroup_id_z 0
		.amdhsa_system_sgpr_workgroup_info 0
		.amdhsa_system_vgpr_workitem_id 0
		.amdhsa_next_free_vgpr 127
		.amdhsa_next_free_sgpr 25
		.amdhsa_reserve_vcc 1
		.amdhsa_reserve_flat_scratch 0
		.amdhsa_float_round_mode_32 0
		.amdhsa_float_round_mode_16_64 0
		.amdhsa_float_denorm_mode_32 3
		.amdhsa_float_denorm_mode_16_64 3
		.amdhsa_dx10_clamp 1
		.amdhsa_ieee_mode 1
		.amdhsa_fp16_overflow 0
		.amdhsa_exception_fp_ieee_invalid_op 0
		.amdhsa_exception_fp_denorm_src 0
		.amdhsa_exception_fp_ieee_div_zero 0
		.amdhsa_exception_fp_ieee_overflow 0
		.amdhsa_exception_fp_ieee_underflow 0
		.amdhsa_exception_fp_ieee_inexact 0
		.amdhsa_exception_int_div_zero 0
	.end_amdhsa_kernel
	.text
.Lfunc_end0:
	.size	bluestein_single_back_len539_dim1_half_op_CI_CI, .Lfunc_end0-bluestein_single_back_len539_dim1_half_op_CI_CI
                                        ; -- End function
	.section	.AMDGPU.csdata,"",@progbits
; Kernel info:
; codeLenInByte = 15724
; NumSgprs: 29
; NumVgprs: 127
; ScratchSize: 0
; MemoryBound: 0
; FloatMode: 240
; IeeeMode: 1
; LDSByteSize: 6468 bytes/workgroup (compile time only)
; SGPRBlocks: 3
; VGPRBlocks: 31
; NumSGPRsForWavesPerEU: 29
; NumVGPRsForWavesPerEU: 127
; Occupancy: 2
; WaveLimiterHint : 1
; COMPUTE_PGM_RSRC2:SCRATCH_EN: 0
; COMPUTE_PGM_RSRC2:USER_SGPR: 6
; COMPUTE_PGM_RSRC2:TRAP_HANDLER: 0
; COMPUTE_PGM_RSRC2:TGID_X_EN: 1
; COMPUTE_PGM_RSRC2:TGID_Y_EN: 0
; COMPUTE_PGM_RSRC2:TGID_Z_EN: 0
; COMPUTE_PGM_RSRC2:TIDIG_COMP_CNT: 0
	.type	__hip_cuid_d949c7555f9df121,@object ; @__hip_cuid_d949c7555f9df121
	.section	.bss,"aw",@nobits
	.globl	__hip_cuid_d949c7555f9df121
__hip_cuid_d949c7555f9df121:
	.byte	0                               ; 0x0
	.size	__hip_cuid_d949c7555f9df121, 1

	.ident	"AMD clang version 19.0.0git (https://github.com/RadeonOpenCompute/llvm-project roc-6.4.0 25133 c7fe45cf4b819c5991fe208aaa96edf142730f1d)"
	.section	".note.GNU-stack","",@progbits
	.addrsig
	.addrsig_sym __hip_cuid_d949c7555f9df121
	.amdgpu_metadata
---
amdhsa.kernels:
  - .args:
      - .actual_access:  read_only
        .address_space:  global
        .offset:         0
        .size:           8
        .value_kind:     global_buffer
      - .actual_access:  read_only
        .address_space:  global
        .offset:         8
        .size:           8
        .value_kind:     global_buffer
      - .actual_access:  read_only
        .address_space:  global
        .offset:         16
        .size:           8
        .value_kind:     global_buffer
      - .actual_access:  read_only
        .address_space:  global
        .offset:         24
        .size:           8
        .value_kind:     global_buffer
      - .actual_access:  read_only
        .address_space:  global
        .offset:         32
        .size:           8
        .value_kind:     global_buffer
      - .offset:         40
        .size:           8
        .value_kind:     by_value
      - .address_space:  global
        .offset:         48
        .size:           8
        .value_kind:     global_buffer
      - .address_space:  global
        .offset:         56
        .size:           8
        .value_kind:     global_buffer
      - .address_space:  global
        .offset:         64
        .size:           8
        .value_kind:     global_buffer
      - .address_space:  global
        .offset:         72
        .size:           8
        .value_kind:     global_buffer
      - .offset:         80
        .size:           4
        .value_kind:     by_value
      - .address_space:  global
        .offset:         88
        .size:           8
        .value_kind:     global_buffer
      - .address_space:  global
        .offset:         96
        .size:           8
        .value_kind:     global_buffer
    .group_segment_fixed_size: 6468
    .kernarg_segment_align: 8
    .kernarg_segment_size: 104
    .language:       OpenCL C
    .language_version:
      - 2
      - 0
    .max_flat_workgroup_size: 231
    .name:           bluestein_single_back_len539_dim1_half_op_CI_CI
    .private_segment_fixed_size: 0
    .sgpr_count:     29
    .sgpr_spill_count: 0
    .symbol:         bluestein_single_back_len539_dim1_half_op_CI_CI.kd
    .uniform_work_group_size: 1
    .uses_dynamic_stack: false
    .vgpr_count:     127
    .vgpr_spill_count: 0
    .wavefront_size: 64
amdhsa.target:   amdgcn-amd-amdhsa--gfx906
amdhsa.version:
  - 1
  - 2
...

	.end_amdgpu_metadata
